;; amdgpu-corpus repo=ROCm/rocFFT kind=compiled arch=gfx1201 opt=O3
	.text
	.amdgcn_target "amdgcn-amd-amdhsa--gfx1201"
	.amdhsa_code_object_version 6
	.protected	bluestein_single_back_len156_dim1_half_op_CI_CI ; -- Begin function bluestein_single_back_len156_dim1_half_op_CI_CI
	.globl	bluestein_single_back_len156_dim1_half_op_CI_CI
	.p2align	8
	.type	bluestein_single_back_len156_dim1_half_op_CI_CI,@function
bluestein_single_back_len156_dim1_half_op_CI_CI: ; @bluestein_single_back_len156_dim1_half_op_CI_CI
; %bb.0:
	s_load_b128 s[12:15], s[0:1], 0x28
	v_mul_u32_u24_e32 v1, 0x13b2, v0
	s_mov_b32 s2, exec_lo
	s_delay_alu instid0(VALU_DEP_1) | instskip(NEXT) | instid1(VALU_DEP_1)
	v_lshrrev_b32_e32 v1, 16, v1
	v_mad_co_u64_u32 v[21:22], null, ttmp9, 9, v[1:2]
	v_mov_b32_e32 v22, 0
                                        ; kill: def $vgpr2 killed $sgpr0 killed $exec
	s_wait_kmcnt 0x0
	s_delay_alu instid0(VALU_DEP_1)
	v_cmpx_gt_u64_e64 s[12:13], v[21:22]
	s_cbranch_execz .LBB0_10
; %bb.1:
	s_clause 0x1
	s_load_b128 s[4:7], s[0:1], 0x18
	s_load_b128 s[8:11], s[0:1], 0x0
	v_mul_lo_u16 v1, v1, 13
	s_movk_i32 s2, 0xfe94
	s_mov_b32 s3, -1
                                        ; implicit-def: $vgpr119
                                        ; implicit-def: $vgpr120
	s_delay_alu instid0(VALU_DEP_1) | instskip(NEXT) | instid1(VALU_DEP_1)
	v_sub_nc_u16 v0, v0, v1
	v_and_b32_e32 v53, 0xffff, v0
	v_and_b32_e32 v16, 0xff, v0
	s_delay_alu instid0(VALU_DEP_2) | instskip(SKIP_3) | instid1(VALU_DEP_2)
	v_add_co_u32 v17, null, v53, 13
	v_add_co_u32 v18, null, v53, 26
	s_wait_kmcnt 0x0
	s_load_b128 s[16:19], s[4:5], 0x0
	v_and_b32_e32 v20, 0xff, v17
	v_add_nc_u32_e32 v19, 39, v53
	v_mul_u32_u24_e32 v23, 3, v17
	v_mul_lo_u16 v16, 0xab, v16
	v_and_b32_e32 v22, 0xff, v18
	s_delay_alu instid0(VALU_DEP_2) | instskip(SKIP_1) | instid1(VALU_DEP_3)
	v_lshrrev_b16 v24, 9, v16
	v_mul_lo_u16 v16, 0xab, v20
	v_mul_lo_u16 v20, 0xab, v22
	v_mul_u32_u24_e32 v22, 3, v18
	s_delay_alu instid0(VALU_DEP_4) | instskip(NEXT) | instid1(VALU_DEP_4)
	v_mul_lo_u16 v25, v24, 3
	v_lshrrev_b16 v26, 9, v16
	s_delay_alu instid0(VALU_DEP_4) | instskip(NEXT) | instid1(VALU_DEP_3)
	v_lshrrev_b16 v27, 9, v20
	v_sub_nc_u16 v25, v0, v25
	s_wait_kmcnt 0x0
	v_mad_co_u64_u32 v[2:3], null, s18, v21, 0
	v_mad_co_u64_u32 v[4:5], null, s16, v53, 0
	s_mul_u64 s[4:5], s[16:17], 0xd0
	s_mul_u64 s[2:3], s[16:17], s[2:3]
	v_mul_lo_u16 v16, v26, 3
	s_delay_alu instid0(VALU_DEP_3) | instskip(NEXT) | instid1(VALU_DEP_3)
	v_mov_b32_e32 v1, v3
	v_mov_b32_e32 v3, v5
	s_delay_alu instid0(VALU_DEP_3) | instskip(NEXT) | instid1(VALU_DEP_3)
	v_sub_nc_u16 v28, v17, v16
	v_mad_co_u64_u32 v[5:6], null, s19, v21, v[1:2]
	s_delay_alu instid0(VALU_DEP_3)
	v_mad_co_u64_u32 v[6:7], null, s17, v53, v[3:4]
	v_lshlrev_b32_e32 v1, 2, v53
	s_clause 0x4
	global_load_b32 v55, v1, s[8:9]
	global_load_b32 v51, v1, s[8:9] offset:52
	global_load_b32 v44, v1, s[8:9] offset:104
	;; [unrolled: 1-line block ×4, first 2 shown]
	v_mov_b32_e32 v3, v5
	v_mov_b32_e32 v5, v6
	s_clause 0x6
	global_load_b32 v50, v1, s[8:9] offset:260
	global_load_b32 v58, v1, s[8:9] offset:208
	;; [unrolled: 1-line block ×7, first 2 shown]
	v_lshlrev_b64_e32 v[2:3], 2, v[2:3]
	v_lshlrev_b64_e32 v[4:5], 2, v[4:5]
	s_delay_alu instid0(VALU_DEP_2) | instskip(NEXT) | instid1(VALU_DEP_3)
	v_add_co_u32 v2, vcc_lo, s14, v2
	v_add_co_ci_u32_e32 v3, vcc_lo, s15, v3, vcc_lo
	s_delay_alu instid0(VALU_DEP_2) | instskip(SKIP_1) | instid1(VALU_DEP_2)
	v_add_co_u32 v2, vcc_lo, v2, v4
	s_wait_alu 0xfffd
	v_add_co_ci_u32_e32 v3, vcc_lo, v3, v5, vcc_lo
	global_load_b32 v6, v[2:3], off
	v_add_co_u32 v2, vcc_lo, v2, s4
	s_wait_alu 0xfffd
	v_add_co_ci_u32_e32 v3, vcc_lo, s5, v3, vcc_lo
	s_delay_alu instid0(VALU_DEP_2) | instskip(SKIP_1) | instid1(VALU_DEP_2)
	v_add_co_u32 v4, vcc_lo, v2, s4
	s_wait_alu 0xfffd
	v_add_co_ci_u32_e32 v5, vcc_lo, s5, v3, vcc_lo
	s_clause 0x1
	global_load_b32 v7, v[2:3], off
	global_load_b32 v8, v[4:5], off
	v_add_co_u32 v2, vcc_lo, v4, s2
	s_wait_alu 0xfffd
	v_add_co_ci_u32_e32 v3, vcc_lo, s3, v5, vcc_lo
	s_delay_alu instid0(VALU_DEP_2) | instskip(SKIP_1) | instid1(VALU_DEP_2)
	v_add_co_u32 v4, vcc_lo, v2, s4
	s_wait_alu 0xfffd
	v_add_co_ci_u32_e32 v5, vcc_lo, s5, v3, vcc_lo
	s_clause 0x1
	global_load_b32 v9, v[2:3], off
	global_load_b32 v10, v[4:5], off
	v_add_co_u32 v2, vcc_lo, v4, s4
	s_wait_alu 0xfffd
	v_add_co_ci_u32_e32 v3, vcc_lo, s5, v5, vcc_lo
	global_load_b32 v11, v[2:3], off
	v_add_co_u32 v2, vcc_lo, v2, s2
	s_wait_alu 0xfffd
	v_add_co_ci_u32_e32 v3, vcc_lo, s3, v3, vcc_lo
	s_delay_alu instid0(VALU_DEP_2) | instskip(SKIP_1) | instid1(VALU_DEP_2)
	v_add_co_u32 v4, vcc_lo, v2, s4
	s_wait_alu 0xfffd
	v_add_co_ci_u32_e32 v5, vcc_lo, s5, v3, vcc_lo
	global_load_b32 v12, v[2:3], off
	v_add_co_u32 v2, vcc_lo, v4, s4
	s_wait_alu 0xfffd
	v_add_co_ci_u32_e32 v3, vcc_lo, s5, v5, vcc_lo
	global_load_b32 v13, v[4:5], off
	;; [unrolled: 4-line block ×5, first 2 shown]
	global_load_b32 v3, v[4:5], off
	v_mul_hi_u32 v4, 0x38e38e39, v21
	v_mul_lo_u16 v5, v0, 3
	s_load_b128 s[4:7], s[6:7], 0x0
	v_cmp_gt_u16_e32 vcc_lo, 12, v0
	s_delay_alu instid0(VALU_DEP_2) | instskip(NEXT) | instid1(VALU_DEP_4)
	v_and_b32_e32 v5, 0xffff, v5
	v_lshrrev_b32_e32 v4, 1, v4
	s_delay_alu instid0(VALU_DEP_1) | instskip(NEXT) | instid1(VALU_DEP_1)
	v_lshl_add_u32 v4, v4, 3, v4
	v_sub_nc_u32_e32 v4, v21, v4
	s_delay_alu instid0(VALU_DEP_1) | instskip(NEXT) | instid1(VALU_DEP_1)
	v_mul_u32_u24_e32 v4, 0x9c, v4
	v_lshlrev_b32_e32 v62, 2, v4
	v_mul_u32_u24_e32 v4, 3, v19
	v_mul_lo_u16 v19, v27, 3
	s_delay_alu instid0(VALU_DEP_3) | instskip(SKIP_1) | instid1(VALU_DEP_3)
	v_lshl_add_u32 v64, v5, 2, v62
	v_mul_lo_u16 v5, v25, 12
	v_sub_nc_u16 v16, v18, v19
	v_lshl_add_u32 v65, v4, 2, v62
	v_lshl_add_u32 v66, v22, 2, v62
	v_add_nc_u32_e32 v46, v1, v62
	v_and_b32_e32 v17, 0xfc, v5
	v_and_b32_e32 v29, 0xff, v16
	v_mul_lo_u16 v18, v28, 12
	v_lshl_add_u32 v63, v23, 2, v62
	s_wait_loadcnt 0x17
	v_lshrrev_b32_e32 v61, 16, v55
	s_wait_loadcnt 0x16
	v_lshrrev_b32_e32 v57, 16, v51
	;; [unrolled: 2-line block ×6, first 2 shown]
	v_lshrrev_b32_e32 v60, 16, v58
	v_lshrrev_b32_e32 v54, 16, v50
	s_wait_loadcnt 0xe
	v_lshrrev_b32_e32 v52, 16, v48
	s_wait_loadcnt 0xd
	v_lshrrev_b32_e32 v45, 16, v41
	v_lshrrev_b32_e32 v42, 16, v39
	s_wait_loadcnt 0xc
	v_lshrrev_b32_e32 v38, 16, v36
	s_wait_loadcnt 0xb
	v_lshrrev_b32_e32 v4, 16, v6
	v_mul_f16_e32 v5, v61, v6
	s_delay_alu instid0(VALU_DEP_2) | instskip(NEXT) | instid1(VALU_DEP_2)
	v_mul_f16_e32 v16, v61, v4
	v_fma_f16 v4, v55, v4, -v5
	s_wait_loadcnt 0xa
	v_lshrrev_b32_e32 v19, 16, v7
	v_mul_f16_e32 v20, v60, v7
	v_fmac_f16_e32 v16, v55, v6
	s_wait_loadcnt 0x9
	v_lshrrev_b32_e32 v6, 16, v8
	v_mul_f16_e32 v5, v60, v19
	v_fma_f16 v19, v58, v19, -v20
	v_mul_f16_e32 v20, v59, v8
	v_pack_b32_f16 v4, v16, v4
	s_delay_alu instid0(VALU_DEP_4) | instskip(SKIP_1) | instid1(VALU_DEP_4)
	v_fmac_f16_e32 v5, v58, v7
	v_mul_f16_e32 v7, v59, v6
	v_fma_f16 v6, v56, v6, -v20
	s_wait_loadcnt 0x8
	v_lshrrev_b32_e32 v16, 16, v9
	v_mul_f16_e32 v20, v57, v9
	v_pack_b32_f16 v5, v5, v19
	v_fmac_f16_e32 v7, v56, v8
	s_wait_loadcnt 0x7
	v_lshrrev_b32_e32 v19, 16, v10
	v_mul_f16_e32 v8, v57, v16
	v_mul_f16_e32 v22, v54, v10
	v_fma_f16 v16, v51, v16, -v20
	v_pack_b32_f16 v6, v7, v6
	v_mul_f16_e32 v7, v54, v19
	v_fmac_f16_e32 v8, v51, v9
	v_fma_f16 v9, v50, v19, -v22
	s_wait_loadcnt 0x6
	v_lshrrev_b32_e32 v19, 16, v11
	v_mul_f16_e32 v20, v52, v11
	ds_store_b32 v46, v5 offset:208
	ds_store_b32 v46, v6 offset:416
	v_pack_b32_f16 v5, v8, v16
	v_fmac_f16_e32 v7, v50, v10
	v_mul_f16_e32 v6, v52, v19
	v_fma_f16 v8, v48, v19, -v20
	s_wait_loadcnt 0x5
	v_lshrrev_b32_e32 v10, 16, v12
	v_mul_f16_e32 v16, v49, v12
	ds_store_2addr_b32 v46, v4, v5 offset1:13
	v_fmac_f16_e32 v6, v48, v11
	v_pack_b32_f16 v4, v7, v9
	v_mul_f16_e32 v5, v49, v10
	v_fma_f16 v7, v44, v10, -v16
	s_wait_loadcnt 0x4
	v_lshrrev_b32_e32 v9, 16, v13
	v_mul_f16_e32 v10, v47, v13
	v_pack_b32_f16 v6, v6, v8
	v_fmac_f16_e32 v5, v44, v12
	s_wait_loadcnt 0x3
	v_lshrrev_b32_e32 v8, 16, v14
	v_mul_f16_e32 v11, v47, v9
	v_fma_f16 v9, v43, v9, -v10
	v_mul_f16_e32 v10, v45, v14
	v_pack_b32_f16 v5, v5, v7
	v_mul_f16_e32 v7, v45, v8
	s_wait_loadcnt 0x2
	v_lshrrev_b32_e32 v12, 16, v15
	v_fmac_f16_e32 v11, v43, v13
	v_fma_f16 v8, v41, v8, -v10
	v_mul_f16_e32 v10, v42, v15
	s_wait_loadcnt 0x1
	v_lshrrev_b32_e32 v13, 16, v2
	s_wait_loadcnt 0x0
	v_lshrrev_b32_e32 v16, 16, v3
	v_fmac_f16_e32 v7, v41, v14
	v_mul_f16_e32 v14, v42, v12
	v_fma_f16 v10, v39, v12, -v10
	v_mul_f16_e32 v12, v40, v2
	v_mul_f16_e32 v19, v40, v13
	;; [unrolled: 1-line block ×4, first 2 shown]
	v_fmac_f16_e32 v14, v39, v15
	v_fma_f16 v12, v37, v13, -v12
	v_fmac_f16_e32 v19, v37, v2
	v_fma_f16 v2, v36, v16, -v20
	v_fmac_f16_e32 v22, v36, v3
	v_pack_b32_f16 v3, v11, v9
	v_pack_b32_f16 v7, v7, v8
	;; [unrolled: 1-line block ×5, first 2 shown]
	ds_store_2addr_b32 v46, v4, v3 offset0:65 offset1:78
	ds_store_2addr_b32 v46, v6, v7 offset0:117 offset1:130
	ds_store_2addr_b32 v46, v5, v8 offset0:26 offset1:39
	ds_store_b32 v46, v9 offset:364
	ds_store_b32 v46, v2 offset:572
	global_wb scope:SCOPE_SE
	s_wait_dscnt 0x0
	s_wait_kmcnt 0x0
	s_barrier_signal -1
	s_barrier_wait -1
	global_inv scope:SCOPE_SE
	ds_load_2addr_b32 v[2:3], v46 offset1:13
	ds_load_2addr_b32 v[4:5], v46 offset0:52 offset1:65
	ds_load_2addr_b32 v[6:7], v46 offset0:104 offset1:117
	;; [unrolled: 1-line block ×5, first 2 shown]
	v_and_b32_e32 v16, 0xfc, v18
	v_add_co_u32 v14, s2, s10, v17
	s_wait_alu 0xf1ff
	v_add_co_ci_u32_e64 v15, null, s11, 0, s2
	v_mad_co_u64_u32 v[22:23], null, v29, 12, s[10:11]
	v_add_co_u32 v16, s2, s10, v16
	s_wait_alu 0xf1ff
	v_add_co_ci_u32_e64 v17, null, s11, 0, s2
	global_wb scope:SCOPE_SE
	s_wait_dscnt 0x0
	s_barrier_signal -1
	s_barrier_wait -1
	global_inv scope:SCOPE_SE
	v_pk_add_f16 v18, v3, v5
	v_pk_add_f16 v19, v5, v7
	v_pk_add_f16 v5, v5, v7 neg_lo:[0,1] neg_hi:[0,1]
	v_pk_add_f16 v20, v8, v10
	v_pk_add_f16 v30, v10, v12
	v_pk_add_f16 v10, v10, v12 neg_lo:[0,1] neg_hi:[0,1]
	;; [unrolled: 3-line block ×4, first 2 shown]
	v_pk_fma_f16 v3, v19, 0.5, v3 op_sel_hi:[1,0,1] neg_lo:[1,0,0] neg_hi:[1,0,0]
	v_pk_mul_f16 v5, 0x3aee, v5 op_sel_hi:[0,1]
	v_pk_fma_f16 v8, v30, 0.5, v8 op_sel_hi:[1,0,1] neg_lo:[1,0,0] neg_hi:[1,0,0]
	v_pk_mul_f16 v10, 0x3aee, v10 op_sel_hi:[0,1]
	;; [unrolled: 2-line block ×3, first 2 shown]
	v_pk_add_f16 v7, v18, v7
	v_pk_fma_f16 v9, v34, 0.5, v9 op_sel_hi:[1,0,1] neg_lo:[1,0,0] neg_hi:[1,0,0]
	v_pk_mul_f16 v11, 0x3aee, v11 op_sel_hi:[0,1]
	v_pk_add_f16 v18, v3, v5 op_sel:[0,1] op_sel_hi:[1,0]
	v_pk_add_f16 v3, v3, v5 op_sel:[0,1] op_sel_hi:[1,0] neg_lo:[0,1] neg_hi:[0,1]
	v_pk_add_f16 v5, v8, v10 op_sel:[0,1] op_sel_hi:[1,0]
	v_pk_add_f16 v8, v8, v10 op_sel:[0,1] op_sel_hi:[1,0] neg_lo:[0,1] neg_hi:[0,1]
	;; [unrolled: 2-line block ×3, first 2 shown]
	v_pk_add_f16 v6, v32, v6
	v_pk_add_f16 v4, v9, v11 op_sel:[0,1] op_sel_hi:[1,0]
	v_pk_add_f16 v9, v9, v11 op_sel:[0,1] op_sel_hi:[1,0] neg_lo:[0,1] neg_hi:[0,1]
	v_bfi_b32 v11, 0xffff, v18, v3
	v_bfi_b32 v19, 0xffff, v10, v2
	;; [unrolled: 1-line block ×4, first 2 shown]
	v_pk_add_f16 v12, v20, v12
	v_pk_add_f16 v13, v31, v13
	v_bfi_b32 v18, 0xffff, v5, v8
	v_bfi_b32 v5, 0xffff, v8, v5
	;; [unrolled: 1-line block ×4, first 2 shown]
	ds_store_2addr_b32 v64, v6, v19 offset1:1
	ds_store_b32 v64, v2 offset:8
	ds_store_2addr_b32 v63, v7, v11 offset1:1
	ds_store_b32 v63, v3 offset:8
	ds_store_2addr_b32 v66, v12, v18 offset1:1
	ds_store_b32 v66, v5 offset:8
	ds_store_2addr_b32 v65, v13, v8 offset1:1
	ds_store_b32 v65, v4 offset:8
	global_wb scope:SCOPE_SE
	s_wait_dscnt 0x0
	s_barrier_signal -1
	s_barrier_wait -1
	global_inv scope:SCOPE_SE
	s_clause 0x2
	global_load_b96 v[18:20], v[14:15], off
	global_load_b96 v[15:17], v[16:17], off
	;; [unrolled: 1-line block ×3, first 2 shown]
	v_mul_lo_u16 v2, v24, 12
	v_and_b32_e32 v3, 0xffff, v27
	v_mul_lo_u16 v4, v26, 12
	s_load_b64 s[2:3], s[0:1], 0x38
	s_delay_alu instid0(VALU_DEP_3) | instskip(NEXT) | instid1(VALU_DEP_3)
	v_or_b32_e32 v0, v2, v25
	v_mul_u32_u24_e32 v22, 12, v3
	s_delay_alu instid0(VALU_DEP_3)
	v_or_b32_e32 v23, v4, v28
	ds_load_2addr_b32 v[2:3], v46 offset1:13
	ds_load_2addr_b32 v[4:5], v46 offset0:26 offset1:39
	ds_load_2addr_b32 v[6:7], v46 offset0:78 offset1:91
	;; [unrolled: 1-line block ×5, first 2 shown]
	v_or_b32_e32 v27, v22, v29
	v_and_b32_e32 v26, 0xff, v23
	v_add_co_u32 v22, s0, s8, v1
	v_and_b32_e32 v0, 0xff, v0
	s_delay_alu instid0(VALU_DEP_4) | instskip(NEXT) | instid1(VALU_DEP_4)
	v_lshl_add_u32 v67, v27, 2, v62
	v_lshl_add_u32 v68, v26, 2, v62
	s_wait_alu 0xf1ff
	v_add_co_ci_u32_e64 v23, null, s9, 0, s0
	v_lshl_add_u32 v69, v0, 2, v62
	global_wb scope:SCOPE_SE
	s_wait_loadcnt_dscnt 0x0
	s_wait_kmcnt 0x0
	s_barrier_signal -1
	s_barrier_wait -1
	global_inv scope:SCOPE_SE
	v_lshrrev_b32_e32 v0, 16, v2
	v_lshrrev_b32_e32 v1, 16, v5
	;; [unrolled: 1-line block ×21, first 2 shown]
	v_mul_f16_e32 v70, v1, v84
	v_mul_f16_e32 v71, v5, v84
	v_mul_f16_e32 v72, v26, v83
	v_mul_f16_e32 v73, v6, v83
	v_mul_f16_e32 v74, v27, v81
	v_mul_f16_e32 v82, v9, v81
	v_mul_f16_e32 v85, v29, v80
	v_mul_f16_e32 v86, v10, v80
	v_mul_f16_e32 v87, v30, v79
	v_mul_f16_e32 v88, v7, v79
	v_mul_f16_e32 v89, v31, v78
	v_mul_f16_e32 v90, v24, v78
	v_mul_f16_e32 v91, v33, v77
	v_mul_f16_e32 v92, v11, v77
	v_mul_f16_e32 v93, v34, v76
	v_mul_f16_e32 v94, v8, v76
	v_mul_f16_e32 v95, v35, v75
	v_mul_f16_e32 v96, v25, v75
	v_fma_f16 v6, v6, v19, -v72
	v_fmac_f16_e32 v71, v1, v18
	v_fmac_f16_e32 v73, v26, v19
	;; [unrolled: 1-line block ×3, first 2 shown]
	v_fma_f16 v1, v5, v18, -v70
	v_fma_f16 v5, v9, v20, -v74
	v_fma_f16 v7, v7, v16, -v87
	v_fmac_f16_e32 v86, v29, v15
	v_fma_f16 v9, v10, v15, -v85
	v_fmac_f16_e32 v88, v30, v16
	v_fma_f16 v10, v24, v17, -v89
	;; [unrolled: 2-line block ×5, first 2 shown]
	v_fmac_f16_e32 v96, v35, v14
	v_sub_f16_e32 v6, v2, v6
	v_sub_f16_e32 v30, v0, v73
	;; [unrolled: 1-line block ×12, first 2 shown]
	v_fma_f16 v2, v2, 2.0, -v6
	v_fma_f16 v0, v0, 2.0, -v30
	;; [unrolled: 1-line block ×4, first 2 shown]
	v_add_f16_e32 v104, v30, v5
	v_fma_f16 v3, v3, 2.0, -v7
	v_fma_f16 v5, v28, 2.0, -v34
	;; [unrolled: 1-line block ×4, first 2 shown]
	v_add_f16_e32 v112, v34, v10
	v_fma_f16 v4, v4, 2.0, -v8
	v_fma_f16 v10, v32, 2.0, -v70
	v_fma_f16 v11, v11, 2.0, -v24
	v_fma_f16 v32, v92, 2.0, -v31
	v_sub_f16_e32 v27, v6, v25
	v_sub_f16_e32 v29, v7, v26
	;; [unrolled: 1-line block ×7, first 2 shown]
	v_add_f16_e32 v111, v70, v24
	v_fma_f16 v106, v30, 2.0, -v104
	v_sub_f16_e32 v30, v4, v11
	v_sub_f16_e32 v113, v10, v32
	v_fma_f16 v25, v6, 2.0, -v27
	v_fma_f16 v24, v2, 2.0, -v26
	;; [unrolled: 1-line block ×11, first 2 shown]
	v_pack_b32_f16 v1, v27, v104
	v_pack_b32_f16 v2, v26, v105
	;; [unrolled: 1-line block ×12, first 2 shown]
	ds_store_2addr_b32 v69, v2, v1 offset0:6 offset1:9
	ds_store_2addr_b32 v69, v8, v0 offset1:3
	ds_store_2addr_b32 v68, v9, v3 offset1:3
	ds_store_2addr_b32 v68, v4, v6 offset0:6 offset1:9
	ds_store_2addr_b32 v67, v11, v5 offset1:3
	ds_store_2addr_b32 v67, v10, v7 offset0:6 offset1:9
	global_wb scope:SCOPE_SE
	s_wait_dscnt 0x0
	s_barrier_signal -1
	s_barrier_wait -1
	global_inv scope:SCOPE_SE
	s_and_saveexec_b32 s0, vcc_lo
	s_cbranch_execz .LBB0_3
; %bb.2:
	ds_load_2addr_b32 v[24:25], v46 offset1:12
	ds_load_2addr_b32 v[26:27], v46 offset0:24 offset1:36
	ds_load_2addr_b32 v[32:33], v46 offset0:48 offset1:60
	;; [unrolled: 1-line block ×5, first 2 shown]
	ds_load_b32 v119, v46 offset:576
	s_wait_dscnt 0x6
	v_lshrrev_b32_e32 v91, 16, v24
	v_lshrrev_b32_e32 v106, 16, v25
	s_wait_dscnt 0x5
	v_lshrrev_b32_e32 v105, 16, v26
	v_lshrrev_b32_e32 v104, 16, v27
	;; [unrolled: 3-line block ×6, first 2 shown]
	s_wait_dscnt 0x0
	v_lshrrev_b32_e32 v120, 16, v119
.LBB0_3:
	s_wait_alu 0xfffe
	s_or_b32 exec_lo, exec_lo, s0
	v_add_nc_u32_e32 v0, -12, v53
	s_delay_alu instid0(VALU_DEP_1) | instskip(NEXT) | instid1(VALU_DEP_1)
	v_cndmask_b32_e32 v0, v0, v53, vcc_lo
	v_mul_i32_i24_e32 v1, 48, v0
	v_mul_hi_i32_i24_e32 v0, 48, v0
	s_delay_alu instid0(VALU_DEP_2) | instskip(SKIP_1) | instid1(VALU_DEP_2)
	v_add_co_u32 v8, s0, s10, v1
	s_wait_alu 0xf1ff
	v_add_co_ci_u32_e64 v9, s0, s11, v0, s0
	s_clause 0x2
	global_load_b128 v[4:7], v[8:9], off offset:36
	global_load_b128 v[0:3], v[8:9], off offset:52
	;; [unrolled: 1-line block ×3, first 2 shown]
	s_wait_loadcnt 0x2
	v_lshrrev_b32_e32 v89, 16, v4
	v_lshrrev_b32_e32 v87, 16, v5
	s_wait_loadcnt 0x0
	v_lshrrev_b32_e32 v90, 16, v11
	v_lshrrev_b32_e32 v85, 16, v6
	;; [unrolled: 1-line block ×4, first 2 shown]
	v_mul_f16_e32 v107, v106, v89
	v_mul_f16_e32 v103, v25, v89
	v_mul_f16_e64 v130, v120, v90
	v_mul_f16_e32 v95, v119, v90
	v_lshrrev_b32_e32 v70, 16, v1
	v_lshrrev_b32_e32 v73, 16, v3
	;; [unrolled: 1-line block ×3, first 2 shown]
	v_mul_f16_e32 v108, v105, v87
	v_mul_f16_e32 v102, v26, v87
	;; [unrolled: 1-line block ×4, first 2 shown]
	v_mul_f16_e64 v129, v111, v88
	v_mul_f16_e32 v94, v31, v88
	v_fma_f16 v110, v25, v4, -v107
	v_fmac_f16_e32 v103, v106, v4
	v_fma_f16 v25, v119, v11, -v130
	v_fmac_f16_e32 v95, v120, v11
	v_lshrrev_b32_e32 v74, 16, v7
	v_lshrrev_b32_e32 v72, 16, v0
	;; [unrolled: 1-line block ×3, first 2 shown]
	v_mul_f16_e32 v121, v104, v85
	v_mul_f16_e32 v124, v114, v70
	;; [unrolled: 1-line block ×4, first 2 shown]
	v_mul_f16_e64 v128, v113, v86
	v_mul_f16_e32 v93, v30, v86
	v_fma_f16 v109, v26, v5, -v108
	v_fmac_f16_e32 v102, v105, v5
	v_fmac_f16_e32 v101, v104, v6
	v_fma_f16 v104, v29, v2, -v125
	v_fma_f16 v29, v31, v10, -v129
	v_fmac_f16_e32 v94, v111, v10
	v_sub_f16_e64 v129, v110, v25
	v_sub_f16_e64 v152, v103, v95
	v_mul_f16_e32 v122, v118, v74
	v_mul_f16_e32 v100, v32, v74
	;; [unrolled: 1-line block ×7, first 2 shown]
	v_fma_f16 v108, v27, v6, -v121
	v_fma_f16 v105, v28, v1, -v124
	v_fmac_f16_e32 v96, v117, v3
	v_fma_f16 v28, v30, v9, -v128
	v_fmac_f16_e32 v93, v113, v9
	v_add_f16_e32 v124, v110, v25
	v_add_f16_e64 v158, v103, v95
	v_sub_f16_e64 v130, v109, v29
	v_sub_f16_e64 v154, v102, v94
	v_mul_f16_e64 v117, 0xb770, v152
	v_mul_f16_e64 v120, 0xb770, v129
	v_mul_f16_e32 v123, v116, v72
	v_fma_f16 v107, v32, v7, -v122
	v_fmac_f16_e32 v100, v118, v7
	v_fmac_f16_e32 v99, v116, v0
	;; [unrolled: 1-line block ×3, first 2 shown]
	v_fma_f16 v32, v35, v8, -v127
	v_fmac_f16_e32 v92, v115, v8
	v_add_f16_e32 v125, v109, v29
	v_add_f16_e64 v160, v102, v94
	v_sub_f16_e32 v127, v108, v28
	v_sub_f16_e64 v155, v101, v93
	v_mul_f16_e64 v114, 0xba95, v154
	v_mul_f16_e64 v116, 0xba95, v130
	v_fmamk_f16 v26, v124, 0x3b15, v117
	v_fma_f16 v27, v158, 0x3b15, -v120
	v_fma_f16 v106, v33, v0, -v123
	;; [unrolled: 1-line block ×3, first 2 shown]
	v_add_f16_e32 v126, v108, v28
	v_add_f16_e64 v162, v101, v93
	v_sub_f16_e64 v128, v107, v32
	v_sub_f16_e64 v156, v100, v92
	v_mul_f16_e64 v111, 0xbbf1, v155
	v_mul_f16_e32 v115, 0xbbf1, v127
	v_fmamk_f16 v118, v125, 0x388b, v114
	v_fma_f16 v123, v160, 0x388b, -v116
	v_add_f16_e32 v26, v24, v26
	v_add_f16_e32 v27, v91, v27
	v_fmac_f16_e32 v97, v112, v2
	v_add_f16_e32 v34, v107, v32
	v_add_f16_e64 v157, v100, v92
	v_sub_f16_e32 v121, v106, v33
	v_sub_f16_e64 v153, v99, v96
	v_mul_f16_e64 v31, 0xbb7b, v156
	v_mul_f16_e64 v112, 0xbb7b, v128
	v_fma_f16 v131, 0x2fb7, v126, v111
	v_fma_f16 v132, v162, 0x2fb7, -v115
	v_add_f16_e32 v26, v118, v26
	v_add_f16_e32 v27, v123, v27
	;; [unrolled: 1-line block ×3, first 2 shown]
	v_add_f16_e64 v159, v99, v96
	v_sub_f16_e32 v122, v105, v104
	v_sub_f16_e64 v151, v98, v97
	v_mul_f16_e64 v35, 0xb94e, v153
	v_mul_f16_e32 v119, 0xb94e, v121
	v_fma_f16 v133, 0xb5ac, v34, v31
	v_fma_f16 v134, v157, 0xb5ac, -v112
	v_add_f16_e64 v26, v131, v26
	v_add_f16_e64 v27, v132, v27
	v_add_f16_e32 v30, v105, v104
	v_add_f16_e64 v161, v98, v97
	v_mul_f16_e64 v118, 0xb3a8, v151
	v_mul_f16_e32 v123, 0xb3a8, v122
	v_fma_f16 v131, 0xb9fd, v113, v35
	v_fma_f16 v132, v159, 0xb9fd, -v119
	v_add_f16_e64 v26, v133, v26
	v_add_f16_e64 v27, v134, v27
	v_fma_f16 v133, 0xbbc4, v30, v118
	v_fma_f16 v134, v161, 0xbbc4, -v123
	s_delay_alu instid0(VALU_DEP_4) | instskip(NEXT) | instid1(VALU_DEP_4)
	v_add_f16_e64 v26, v131, v26
	v_add_f16_e64 v27, v132, v27
	s_delay_alu instid0(VALU_DEP_2) | instskip(NEXT) | instid1(VALU_DEP_2)
	v_add_f16_e64 v26, v133, v26
	v_add_f16_e64 v27, v134, v27
	s_and_saveexec_b32 s0, vcc_lo
	s_cbranch_execz .LBB0_5
; %bb.4:
	v_mul_f16_e64 v163, 0x388b, v158
	v_mul_f16_e64 v164, 0xb5ac, v160
	;; [unrolled: 1-line block ×5, first 2 shown]
	v_fma_f16 v132, 0x3a95, v129, v163
	v_fma_f16 v143, 0x3b7b, v130, v164
	;; [unrolled: 1-line block ×4, first 2 shown]
	v_mul_f16_e64 v167, 0xbb7b, v154
	v_add_f16_e64 v142, v91, v132
	v_mul_f16_e64 v147, 0x2fb7, v159
	v_mul_f16_e64 v168, 0xb3a8, v155
	v_add_f16_e64 v145, v24, v145
	v_fma_f16 v149, 0xb5ac, v125, v167
	v_add_f16_e64 v142, v143, v142
	v_mul_f16_e64 v148, 0x3b15, v161
	v_fma_f16 v150, 0xbbc4, v126, v168
	v_mul_f16_e64 v169, 0x2fb7, v158
	v_add_f16_e64 v145, v149, v145
	v_add_f16_e64 v142, v144, v142
	v_fma_f16 v144, 0xb94e, v128, v146
	v_mul_f16_e64 v149, 0x394e, v156
	v_mul_f16_e64 v170, 0x3bf1, v153
	v_add_f16_e64 v145, v150, v145
	v_mul_f16_e64 v171, 0xbbc4, v160
	v_add_f16_e64 v142, v144, v142
	v_fma_f16 v144, 0xbbf1, v121, v147
	v_fma_f16 v150, 0xb9fd, v34, v149
	;; [unrolled: 1-line block ×4, first 2 shown]
	v_mul_f16_e64 v175, 0xbbf1, v152
	v_add_f16_e64 v142, v144, v142
	v_fma_f16 v144, 0xb770, v122, v148
	v_add_f16_e64 v150, v150, v145
	v_mul_f16_e64 v145, 0x3770, v151
	v_mul_f16_e64 v180, 0x3b7b, v155
	v_mul_f16_e64 v182, 0x3770, v156
	v_add_f16_e64 v142, v144, v142
	v_fma_f16 v144, 0x3bf1, v129, v169
	v_add_f16_e64 v150, v172, v150
	v_fma_f16 v172, 0x3b15, v30, v145
	v_mul_f16_e64 v174, 0xb5ac, v162
	v_fma_f16 v184, 0x3b15, v34, v182
	v_add_f16_e64 v144, v91, v144
	v_mul_f16_e64 v185, 0xba95, v153
	v_mul_f16_e64 v177, 0x3b15, v157
	v_fma_f16 v176, 0xbb7b, v127, v174
	v_mul_f16_e64 v186, 0xb94e, v151
	v_add_f16_e64 v173, v173, v144
	v_add_f16_e64 v144, v172, v150
	v_fma_f16 v150, 0x2fb7, v124, v175
	v_mul_f16_e64 v172, 0xb3a8, v154
	v_mul_f16_e64 v178, 0x388b, v159
	v_add_f16_e64 v173, v176, v173
	v_fma_f16 v176, 0xb770, v128, v177
	v_add_f16_e64 v150, v24, v150
	v_fma_f16 v179, 0xbbc4, v125, v172
	v_mul_f16_e64 v189, 0xbb7b, v152
	v_mul_f16_e64 v181, 0xb9fd, v161
	v_add_f16_e64 v173, v176, v173
	v_fma_f16 v176, 0x3a95, v121, v178
	;; [unrolled: 6-line block ×3, first 2 shown]
	v_add_f16_e64 v179, v179, v150
	v_fma_f16 v193, 0xb9fd, v125, v191
	v_mul_f16_e64 v194, 0x3770, v155
	v_mul_f16_e64 v196, 0xbbf1, v156
	v_add_f16_e64 v150, v176, v173
	v_add_f16_e64 v179, v184, v179
	v_fma_f16 v184, 0x388b, v113, v185
	v_fma_f16 v173, 0x3b7b, v129, v183
	v_mul_f16_e64 v176, 0xb9fd, v160
	v_mul_f16_e64 v188, 0x3b15, v162
	;; [unrolled: 1-line block ×3, first 2 shown]
	v_add_f16_e64 v179, v184, v179
	v_fma_f16 v184, 0xb9fd, v30, v186
	v_add_f16_e64 v173, v91, v173
	v_fma_f16 v187, 0xb94e, v130, v176
	v_mul_f16_e64 v190, 0x2fb7, v157
	v_mul_f16_e64 v200, 0x3a95, v151
	v_add_f16_e64 v179, v184, v179
	v_fma_f16 v184, 0xb5ac, v124, v189
	v_add_f16_e64 v173, v187, v173
	v_fma_f16 v187, 0xb770, v127, v188
	v_mul_f16_e64 v192, 0xbbc4, v159
	v_mul_f16_e64 v203, 0xb94e, v152
	v_add_f16_e64 v184, v24, v184
	v_mul_f16_e64 v195, 0x388b, v161
	v_add_f16_e64 v173, v187, v173
	v_fma_f16 v187, 0x3bf1, v128, v190
	v_mul_f16_e64 v205, 0x3bf1, v154
	v_add_f16_e64 v184, v193, v184
	v_fma_f16 v193, 0x3b15, v126, v194
	;; [unrolled: 3-line block ×3, first 2 shown]
	v_fma_f16 v207, 0x2fb7, v125, v205
	v_add_f16_e64 v184, v193, v184
	v_fma_f16 v193, 0x2fb7, v34, v196
	v_mul_f16_e64 v208, 0xba95, v155
	v_add_f16_e64 v173, v187, v173
	v_fma_f16 v187, 0xba95, v122, v195
	v_mul_f16_e64 v199, 0x2fb7, v160
	;; [unrolled: 3-line block ×3, first 2 shown]
	v_add_f16_e64 v173, v187, v173
	v_fma_f16 v187, 0x394e, v129, v197
	v_fma_f16 v201, 0xbbf1, v130, v199
	v_add_f16_e64 v184, v193, v184
	v_fma_f16 v193, 0x388b, v30, v200
	v_mul_f16_e64 v202, 0x388b, v162
	v_add_f16_e64 v187, v91, v187
	v_mul_f16_e64 v211, 0x3770, v153
	v_mul_f16_e64 v204, 0xbbc4, v157
	v_add_f16_e64 v184, v193, v184
	v_fma_f16 v193, 0xb9fd, v124, v203
	v_add_f16_e64 v187, v201, v187
	v_fma_f16 v201, 0x3a95, v127, v202
	v_mul_f16_e64 v212, 0xbb7b, v151
	v_mul_f16_e64 v206, 0x3b15, v159
	v_add_f16_e64 v193, v24, v193
	v_mul_f16_e64 v152, 0xb3a8, v152
	v_add_f16_e64 v187, v201, v187
	v_fma_f16 v201, 0xb3a8, v128, v204
	v_mul_f16_e64 v209, 0xb5ac, v161
	v_add_f16_e64 v193, v207, v193
	v_fma_f16 v207, 0x388b, v126, v208
	;; [unrolled: 3-line block ×5, first 2 shown]
	v_fma_f16 v214, 0x3b15, v125, v154
	v_add_f16_e64 v193, v207, v193
	v_fma_f16 v207, 0x3b15, v113, v211
	v_mul_f16_e64 v155, 0xb94e, v155
	v_fma_f16 v154, v125, 0x3b15, -v154
	v_mul_f16_e64 v141, 0x388b, v160
	v_add_f16_e64 v187, v201, v187
	v_add_f16_e64 v193, v207, v193
	v_fma_f16 v207, 0xb5ac, v30, v212
	v_fma_f16 v201, 0x33a8, v129, v158
	v_mul_f16_e64 v160, 0x3b15, v160
	v_mul_f16_e64 v156, 0x3a95, v156
	v_fmac_f16_e64 v158, 0xb3a8, v129
	v_add_f16_e64 v193, v207, v193
	v_fma_f16 v207, 0xbbc4, v124, v152
	v_fma_f16 v152, v124, 0xbbc4, -v152
	v_fma_f16 v213, 0xb770, v130, v160
	v_add_f16_e64 v158, v91, v158
	v_fmac_f16_e64 v160, 0x3770, v130
	v_mul_f16_e64 v153, 0xbb7b, v153
	v_add_f16_e64 v152, v24, v152
	v_add_f16_e64 v207, v24, v207
	v_mul_f16_e64 v140, 0x2fb7, v162
	v_add_f16_e64 v158, v160, v158
	v_fma_f16 v160, 0xb5ac, v113, v153
	v_add_f16_e64 v152, v154, v152
	v_fma_f16 v154, v126, 0xb9fd, -v155
	v_fma_f16 v153, v113, 0xb5ac, -v153
	v_add_f16_e64 v201, v91, v201
	v_mul_f16_e64 v162, 0xb9fd, v162
	v_add_f16_e64 v207, v214, v207
	v_add_f16_e64 v152, v154, v152
	v_fma_f16 v154, v34, 0x388b, -v156
	v_fma_f16 v214, 0xb9fd, v126, v155
	v_mul_f16_e64 v137, 0xb5ac, v157
	v_add_f16_e64 v201, v213, v201
	v_fma_f16 v213, 0x394e, v127, v162
	v_add_f16_e64 v152, v154, v152
	v_fma_f16 v154, v124, 0xb9fd, -v203
	v_mul_f16_e64 v157, 0x388b, v157
	v_add_f16_e64 v207, v214, v207
	v_fma_f16 v214, 0x388b, v34, v156
	v_add_f16_e64 v152, v153, v152
	v_add_f16_e64 v153, v24, v154
	v_fma_f16 v154, v125, 0x2fb7, -v205
	v_fmac_f16_e64 v162, 0xb94e, v127
	v_mul_f16_e64 v138, 0xb9fd, v159
	v_add_f16_e64 v201, v213, v201
	v_fma_f16 v213, 0xba95, v128, v157
	v_add_f16_e64 v153, v154, v153
	v_fma_f16 v154, v126, 0x388b, -v208
	v_mul_f16_e64 v159, 0xb5ac, v159
	v_add_f16_e64 v207, v214, v207
	v_mul_f16_e64 v151, 0x3bf1, v151
	v_add_f16_e64 v158, v162, v158
	v_add_f16_e64 v153, v154, v153
	v_fma_f16 v154, v34, 0xbbc4, -v210
	v_fmac_f16_e64 v157, 0x3a95, v128
	v_mul_f16_e64 v143, 0xbbc4, v161
	v_add_f16_e64 v201, v213, v201
	v_fma_f16 v213, 0x3b7b, v121, v159
	v_add_f16_e64 v153, v154, v153
	v_fma_f16 v154, v113, 0x3b15, -v211
	v_mul_f16_e64 v161, 0x2fb7, v161
	v_add_f16_e64 v160, v160, v207
	v_fma_f16 v162, 0x2fb7, v30, v151
	v_add_f16_e64 v155, v157, v158
	v_fmac_f16_e64 v159, 0xbb7b, v121
	v_add_f16_e64 v153, v154, v153
	v_fma_f16 v154, v124, 0xb5ac, -v189
	v_fmac_f16_e64 v169, 0xbbf1, v129
	v_add_f16_e64 v201, v213, v201
	v_fma_f16 v213, 0xbbf1, v122, v161
	v_add_f16_e64 v157, v162, v160
	v_add_f16_e64 v155, v159, v155
	v_fmac_f16_e64 v161, 0x3bf1, v122
	v_add_f16_e64 v154, v24, v154
	v_fma_f16 v159, v125, 0xb9fd, -v191
	v_add_f16_e64 v160, v91, v169
	v_fmac_f16_e64 v171, 0xb3a8, v130
	v_mul_f16_e64 v133, 0x3b15, v124
	v_add_f16_e64 v155, v161, v155
	v_add_f16_e64 v154, v159, v154
	v_fma_f16 v159, v126, 0x3b15, -v194
	v_add_f16_e64 v160, v171, v160
	v_fmac_f16_e64 v174, 0x3b7b, v127
	v_fma_f16 v161, v124, 0x2fb7, -v175
	v_fma_f16 v124, v124, 0x388b, -v166
	v_add_f16_e32 v110, v24, v110
	v_add_f16_e32 v103, v91, v103
	v_mul_f16_e64 v139, 0x388b, v125
	v_add_f16_e64 v154, v159, v154
	v_fma_f16 v159, v34, 0x2fb7, -v196
	v_add_f16_e64 v160, v174, v160
	v_fmac_f16_e64 v177, 0x3770, v128
	v_add_f16_e64 v161, v24, v161
	v_fma_f16 v162, v125, 0xbbc4, -v172
	v_add_f16_e32 v124, v24, v124
	v_fma_f16 v125, v125, 0xb5ac, -v167
	v_add_f16_e32 v109, v110, v109
	v_add_f16_e32 v102, v103, v102
	v_add_f16_e64 v154, v159, v154
	v_fma_f16 v159, v113, 0xbbc4, -v198
	v_add_f16_e64 v160, v177, v160
	v_fmac_f16_e64 v178, 0xba95, v121
	v_add_f16_e64 v161, v162, v161
	v_fma_f16 v162, v126, 0xb5ac, -v180
	v_add_f16_e32 v124, v125, v124
	v_fma_f16 v125, v126, 0xbbc4, -v168
	v_add_f16_e32 v108, v109, v108
	v_add_f16_e32 v101, v102, v101
	v_mul_f16_e64 v134, 0xb5ac, v34
	v_fmac_f16_e64 v197, 0xb94e, v129
	v_fmac_f16_e64 v206, 0x3770, v121
	;; [unrolled: 1-line block ×3, first 2 shown]
	v_add_f16_e64 v154, v159, v154
	v_add_f16_e64 v159, v178, v160
	;; [unrolled: 1-line block ×3, first 2 shown]
	v_fma_f16 v161, v34, 0x3b15, -v182
	v_fmac_f16_e64 v147, 0x3bf1, v121
	v_add_f16_e32 v121, v125, v124
	v_fma_f16 v34, v34, 0xb9fd, -v149
	v_add_f16_e32 v107, v108, v107
	v_add_f16_e32 v100, v101, v100
	v_add_f16_e64 v156, v91, v197
	v_fmac_f16_e64 v199, 0x3bf1, v130
	v_fmac_f16_e64 v183, 0xbb7b, v129
	;; [unrolled: 1-line block ×3, first 2 shown]
	v_add_f16_e32 v34, v34, v121
	v_fma_f16 v102, v113, 0x2fb7, -v170
	v_add_f16_e64 v101, v120, v136
	v_add_f16_e32 v106, v107, v106
	v_add_f16_e32 v99, v100, v99
	v_add_f16_e64 v156, v199, v156
	v_fmac_f16_e64 v202, 0xba95, v127
	v_add_f16_e64 v158, v91, v183
	v_add_f16_e64 v162, v91, v163
	v_add_f16_e32 v34, v102, v34
	v_sub_f16_e64 v102, v133, v117
	v_add_f16_e32 v91, v91, v101
	v_add_f16_e32 v101, v106, v105
	;; [unrolled: 1-line block ×3, first 2 shown]
	v_mul_f16_e64 v135, 0x2fb7, v126
	v_add_f16_e64 v156, v202, v156
	v_fmac_f16_e64 v204, 0x33a8, v128
	v_fmac_f16_e64 v164, 0xbb7b, v130
	v_add_f16_e64 v100, v116, v141
	v_add_f16_e32 v24, v24, v102
	v_sub_f16_e64 v99, v139, v114
	v_add_f16_e32 v101, v101, v104
	v_add_f16_e32 v97, v98, v97
	v_add_f16_e64 v156, v204, v156
	v_fmac_f16_e64 v176, 0x394e, v130
	v_fmac_f16_e64 v181, 0xb94e, v122
	v_add_f16_e64 v130, v161, v160
	v_add_f16_e64 v161, v164, v162
	v_fmac_f16_e64 v165, 0xb3a8, v127
	v_add_f16_e32 v91, v100, v91
	v_add_f16_e64 v100, v115, v140
	v_add_f16_e32 v24, v99, v24
	v_sub_f16_e64 v98, v135, v111
	v_add_f16_e32 v33, v101, v33
	v_add_f16_e32 v96, v97, v96
	v_mul_f16_e64 v131, 0xb9fd, v113
	v_fma_f16 v151, v30, 0x2fb7, -v151
	v_add_f16_e64 v156, v206, v156
	v_fmac_f16_e64 v209, 0xbb7b, v122
	v_add_f16_e64 v158, v176, v158
	v_fmac_f16_e64 v188, 0x3770, v127
	v_add_f16_e64 v127, v181, v159
	v_add_f16_e64 v159, v165, v161
	v_fmac_f16_e64 v146, 0x394e, v128
	v_add_f16_e32 v91, v100, v91
	v_add_f16_e64 v97, v112, v137
	v_add_f16_e32 v24, v98, v24
	v_sub_f16_e64 v31, v134, v31
	v_add_f16_e32 v32, v33, v32
	v_add_f16_e32 v33, v96, v92
	v_mul_f16_e64 v132, 0xbbc4, v30
	v_add_f16_e64 v151, v151, v152
	v_add_f16_e64 v152, v209, v156
	;; [unrolled: 1-line block ×3, first 2 shown]
	v_fmac_f16_e64 v190, 0xbbf1, v128
	v_add_f16_e64 v126, v146, v159
	v_add_f16_e32 v91, v97, v91
	v_add_f16_e64 v92, v119, v138
	v_add_f16_e32 v24, v31, v24
	v_add_f16_e32 v28, v32, v28
	;; [unrolled: 1-line block ×3, first 2 shown]
	v_sub_f16_e64 v32, v131, v35
	v_add_f16_e64 v156, v190, v156
	v_fma_f16 v160, v113, 0x388b, -v185
	v_add_f16_e64 v103, v147, v126
	v_fmac_f16_e64 v148, 0x3770, v122
	v_add_f16_e32 v33, v92, v91
	v_add_f16_e64 v35, v123, v143
	v_add_f16_e32 v28, v28, v29
	v_add_f16_e32 v29, v31, v94
	v_add_f16_e32 v24, v32, v24
	v_sub_f16_e64 v31, v132, v118
	v_fma_f16 v32, v30, 0x3b15, -v145
	v_fma_f16 v158, v30, 0xb5ac, -v212
	v_add_f16_e64 v156, v192, v156
	v_fmac_f16_e64 v195, 0x3a95, v122
	v_fma_f16 v129, v30, 0x388b, -v200
	v_add_f16_e64 v130, v160, v130
	v_add_f16_e64 v103, v148, v103
	v_add_f16_e32 v25, v28, v25
	v_add_f16_e32 v28, v29, v95
	;; [unrolled: 1-line block ×5, first 2 shown]
	v_fma_f16 v30, v30, 0xb9fd, -v186
	v_add_f16_e64 v156, v195, v156
	v_pack_b32_f16 v25, v25, v28
	v_pack_b32_f16 v24, v24, v29
	;; [unrolled: 1-line block ×3, first 2 shown]
	v_add_f16_e64 v30, v30, v130
	v_add_f16_e64 v31, v129, v154
	v_lshl_add_u32 v28, v53, 2, v62
	v_add_f16_e64 v32, v158, v153
	v_add_f16_e64 v201, v213, v201
	ds_store_b32 v46, v25
	ds_store_2addr_b32 v28, v24, v29 offset0:12 offset1:24
	v_pack_b32_f16 v24, v30, v127
	v_pack_b32_f16 v25, v31, v156
	;; [unrolled: 1-line block ×9, first 2 shown]
	v_perm_b32 v91, v27, v26, 0x5040100
	ds_store_2addr_b32 v28, v24, v25 offset0:36 offset1:48
	ds_store_2addr_b32 v28, v29, v30 offset0:60 offset1:72
	;; [unrolled: 1-line block ×5, first 2 shown]
.LBB0_5:
	s_wait_alu 0xfffe
	s_or_b32 exec_lo, exec_lo, s0
	global_wb scope:SCOPE_SE
	s_wait_dscnt 0x0
	s_barrier_signal -1
	s_barrier_wait -1
	global_inv scope:SCOPE_SE
	global_load_b32 v91, v[22:23], off offset:624
	v_lshlrev_b32_e32 v22, 2, v53
	s_add_nc_u64 s[0:1], s[8:9], 0x270
	s_clause 0xa
	global_load_b32 v92, v22, s[0:1] offset:416
	global_load_b32 v93, v22, s[0:1] offset:208
	;; [unrolled: 1-line block ×11, first 2 shown]
	ds_load_2addr_b32 v[22:23], v46 offset1:13
	ds_load_2addr_b32 v[24:25], v46 offset0:52 offset1:65
	ds_load_2addr_b32 v[28:29], v46 offset0:104 offset1:117
	;; [unrolled: 1-line block ×5, first 2 shown]
	s_wait_dscnt 0x5
	v_lshrrev_b32_e32 v103, 16, v22
	s_wait_dscnt 0x4
	v_lshrrev_b32_e32 v104, 16, v24
	;; [unrolled: 2-line block ×3, first 2 shown]
	v_lshrrev_b32_e32 v106, 16, v23
	v_lshrrev_b32_e32 v107, 16, v25
	;; [unrolled: 1-line block ×3, first 2 shown]
	s_wait_dscnt 0x2
	v_lshrrev_b32_e32 v109, 16, v30
	v_lshrrev_b32_e32 v113, 16, v31
	s_wait_dscnt 0x1
	v_lshrrev_b32_e32 v110, 16, v32
	s_wait_dscnt 0x0
	v_lshrrev_b32_e32 v112, 16, v34
	v_lshrrev_b32_e32 v114, 16, v33
	v_lshrrev_b32_e32 v115, 16, v35
	s_wait_loadcnt 0xa
	v_lshrrev_b32_e32 v118, 16, v92
	s_wait_loadcnt 0x9
	v_lshrrev_b32_e32 v117, 16, v93
	;; [unrolled: 2-line block ×4, first 2 shown]
	v_lshrrev_b32_e32 v111, 16, v91
	s_wait_loadcnt 0x5
	v_lshrrev_b32_e32 v121, 16, v97
	v_lshrrev_b32_e32 v122, 16, v96
	s_wait_loadcnt 0x3
	v_lshrrev_b32_e32 v123, 16, v99
	v_lshrrev_b32_e32 v124, 16, v98
	v_mul_f16_e32 v116, v103, v111
	v_mul_f16_e32 v111, v22, v111
	s_wait_loadcnt 0x1
	v_lshrrev_b32_e32 v125, 16, v101
	v_lshrrev_b32_e32 v126, 16, v100
	s_wait_loadcnt 0x0
	v_lshrrev_b32_e32 v127, 16, v102
	v_fma_f16 v22, v22, v91, -v116
	v_fmac_f16_e32 v111, v103, v91
	v_mul_f16_e32 v91, v104, v117
	v_mul_f16_e32 v103, v24, v117
	v_mul_f16_e32 v116, v105, v118
	v_mul_f16_e32 v117, v28, v118
	v_mul_f16_e32 v118, v106, v119
	v_mul_f16_e32 v119, v23, v119
	v_mul_f16_e64 v128, v107, v120
	v_mul_f16_e32 v120, v25, v120
	v_mul_f16_e64 v129, v108, v121
	v_mul_f16_e32 v121, v29, v121
	;; [unrolled: 2-line block ×8, first 2 shown]
	v_fma_f16 v23, v23, v95, -v118
	v_fmac_f16_e32 v119, v106, v95
	v_fma_f16 v24, v24, v93, -v91
	v_fmac_f16_e32 v103, v104, v93
	;; [unrolled: 2-line block ×11, first 2 shown]
	v_pack_b32_f16 v22, v22, v111
	v_pack_b32_f16 v23, v23, v119
	;; [unrolled: 1-line block ×12, first 2 shown]
	ds_store_2addr_b32 v46, v22, v23 offset1:13
	ds_store_2addr_b32 v46, v24, v25 offset0:52 offset1:65
	ds_store_2addr_b32 v46, v28, v29 offset0:104 offset1:117
	;; [unrolled: 1-line block ×5, first 2 shown]
	global_wb scope:SCOPE_SE
	s_wait_dscnt 0x0
	s_barrier_signal -1
	s_barrier_wait -1
	global_inv scope:SCOPE_SE
	ds_load_2addr_b32 v[22:23], v46 offset1:13
	ds_load_2addr_b32 v[24:25], v46 offset0:52 offset1:65
	ds_load_2addr_b32 v[28:29], v46 offset0:104 offset1:117
	;; [unrolled: 1-line block ×5, first 2 shown]
	global_wb scope:SCOPE_SE
	s_wait_dscnt 0x0
	s_barrier_signal -1
	s_barrier_wait -1
	global_inv scope:SCOPE_SE
	v_pk_add_f16 v91, v23, v25
	v_pk_add_f16 v92, v25, v29
	v_pk_add_f16 v25, v25, v29 neg_lo:[0,1] neg_hi:[0,1]
	v_pk_add_f16 v93, v30, v32
	v_pk_add_f16 v94, v32, v34
	v_pk_add_f16 v32, v32, v34 neg_lo:[0,1] neg_hi:[0,1]
	v_pk_add_f16 v96, v22, v24
	v_pk_add_f16 v97, v24, v28
	v_pk_add_f16 v24, v24, v28 neg_lo:[0,1] neg_hi:[0,1]
	v_pk_add_f16 v95, v31, v33
	v_pk_add_f16 v98, v33, v35
	v_pk_add_f16 v33, v33, v35 neg_lo:[0,1] neg_hi:[0,1]
	v_pk_fma_f16 v23, v92, 0.5, v23 op_sel_hi:[1,0,1] neg_lo:[1,0,0] neg_hi:[1,0,0]
	v_pk_mul_f16 v25, 0x3aee, v25 op_sel_hi:[0,1]
	v_pk_fma_f16 v30, v94, 0.5, v30 op_sel_hi:[1,0,1] neg_lo:[1,0,0] neg_hi:[1,0,0]
	v_pk_mul_f16 v32, 0x3aee, v32 op_sel_hi:[0,1]
	;; [unrolled: 2-line block ×4, first 2 shown]
	v_pk_add_f16 v29, v91, v29
	v_pk_add_f16 v91, v23, v25 op_sel:[0,1] op_sel_hi:[1,0] neg_lo:[0,1] neg_hi:[0,1]
	v_pk_add_f16 v23, v23, v25 op_sel:[0,1] op_sel_hi:[1,0]
	v_pk_add_f16 v25, v30, v32 op_sel:[0,1] op_sel_hi:[1,0] neg_lo:[0,1] neg_hi:[0,1]
	v_pk_add_f16 v30, v30, v32 op_sel:[0,1] op_sel_hi:[1,0]
	;; [unrolled: 2-line block ×4, first 2 shown]
	v_pk_add_f16 v28, v96, v28
	v_bfi_b32 v33, 0xffff, v91, v23
	v_bfi_b32 v92, 0xffff, v32, v22
	v_bfi_b32 v22, 0xffff, v22, v32
	v_bfi_b32 v23, 0xffff, v23, v91
	v_pk_add_f16 v34, v93, v34
	v_pk_add_f16 v35, v95, v35
	v_bfi_b32 v91, 0xffff, v25, v30
	v_bfi_b32 v25, 0xffff, v30, v25
	;; [unrolled: 1-line block ×4, first 2 shown]
	ds_store_2addr_b32 v64, v28, v92 offset1:1
	ds_store_b32 v64, v22 offset:8
	ds_store_2addr_b32 v63, v29, v33 offset1:1
	ds_store_b32 v63, v23 offset:8
	;; [unrolled: 2-line block ×4, first 2 shown]
	global_wb scope:SCOPE_SE
	s_wait_dscnt 0x0
	s_barrier_signal -1
	s_barrier_wait -1
	global_inv scope:SCOPE_SE
	ds_load_2addr_b32 v[22:23], v46 offset1:13
	ds_load_2addr_b32 v[24:25], v46 offset0:26 offset1:39
	ds_load_2addr_b32 v[28:29], v46 offset0:78 offset1:91
	;; [unrolled: 1-line block ×5, first 2 shown]
	global_wb scope:SCOPE_SE
	s_wait_dscnt 0x0
	s_barrier_signal -1
	s_barrier_wait -1
	global_inv scope:SCOPE_SE
	v_lshrrev_b32_e32 v63, 16, v22
	v_lshrrev_b32_e32 v64, 16, v25
	;; [unrolled: 1-line block ×10, first 2 shown]
	v_mul_f16_e32 v100, v83, v28
	v_mul_f16_e32 v99, v84, v25
	;; [unrolled: 1-line block ×15, first 2 shown]
	v_fma_f16 v65, v19, v65, -v100
	v_mul_f16_e32 v77, v77, v96
	v_mul_f16_e32 v76, v76, v97
	;; [unrolled: 1-line block ×3, first 2 shown]
	v_fma_f16 v64, v18, v64, -v99
	v_fma_f16 v66, v20, v66, -v101
	v_fmac_f16_e32 v84, v18, v25
	v_fmac_f16_e32 v83, v19, v28
	;; [unrolled: 1-line block ×3, first 2 shown]
	v_lshrrev_b32_e32 v91, 16, v23
	v_fma_f16 v92, v15, v92, -v102
	v_fma_f16 v93, v16, v93, -v103
	;; [unrolled: 1-line block ×3, first 2 shown]
	v_fmac_f16_e32 v80, v15, v32
	v_fmac_f16_e32 v79, v16, v29
	;; [unrolled: 1-line block ×3, first 2 shown]
	v_lshrrev_b32_e32 v95, 16, v24
	v_fma_f16 v96, v12, v96, -v105
	v_fma_f16 v97, v13, v97, -v106
	;; [unrolled: 1-line block ×3, first 2 shown]
	v_fmac_f16_e32 v77, v12, v33
	v_fmac_f16_e32 v76, v13, v30
	;; [unrolled: 1-line block ×3, first 2 shown]
	v_sub_f16_e32 v12, v63, v65
	v_sub_f16_e32 v13, v64, v66
	;; [unrolled: 1-line block ×10, first 2 shown]
	v_fma_f16 v20, v63, 2.0, -v12
	v_sub_f16_e32 v63, v24, v76
	v_sub_f16_e32 v34, v77, v75
	v_fma_f16 v18, v64, 2.0, -v13
	v_fma_f16 v22, v22, 2.0, -v29
	;; [unrolled: 1-line block ×11, first 2 shown]
	v_sub_f16_e32 v32, v20, v18
	v_add_f16_e32 v19, v29, v13
	v_sub_f16_e32 v76, v12, v15
	v_sub_f16_e32 v18, v22, v75
	v_sub_f16_e32 v65, v33, v31
	v_add_f16_e32 v15, v30, v14
	v_sub_f16_e32 v66, v16, v25
	v_sub_f16_e32 v14, v79, v23
	;; [unrolled: 4-line block ×3, first 2 shown]
	v_fma_f16 v20, v20, 2.0, -v32
	v_fma_f16 v13, v29, 2.0, -v19
	v_fma_f16 v31, v12, 2.0, -v76
	v_fma_f16 v12, v22, 2.0, -v18
	v_fma_f16 v33, v33, 2.0, -v65
	v_fma_f16 v17, v30, 2.0, -v15
	v_fma_f16 v34, v16, 2.0, -v66
	v_fma_f16 v16, v79, 2.0, -v14
	v_fma_f16 v35, v35, 2.0, -v77
	v_fma_f16 v23, v63, 2.0, -v25
	v_fma_f16 v63, v28, 2.0, -v78
	v_fma_f16 v22, v80, 2.0, -v24
	v_pack_b32_f16 v28, v19, v76
	v_pack_b32_f16 v75, v18, v32
	;; [unrolled: 1-line block ×12, first 2 shown]
	ds_store_2addr_b32 v69, v75, v28 offset0:6 offset1:9
	ds_store_2addr_b32 v69, v83, v64 offset1:3
	ds_store_2addr_b32 v68, v84, v79 offset1:3
	ds_store_2addr_b32 v68, v80, v29 offset0:6 offset1:9
	ds_store_2addr_b32 v67, v92, v81 offset1:3
	ds_store_2addr_b32 v67, v91, v30 offset0:6 offset1:9
	global_wb scope:SCOPE_SE
	s_wait_dscnt 0x0
	s_barrier_signal -1
	s_barrier_wait -1
	global_inv scope:SCOPE_SE
	s_and_saveexec_b32 s0, vcc_lo
	s_cbranch_execz .LBB0_7
; %bb.6:
	ds_load_2addr_b32 v[12:13], v46 offset1:12
	ds_load_2addr_b32 v[18:19], v46 offset0:24 offset1:36
	ds_load_2addr_b32 v[16:17], v46 offset0:48 offset1:60
	;; [unrolled: 1-line block ×5, first 2 shown]
	ds_load_b32 v26, v46 offset:576
	s_wait_dscnt 0x6
	v_lshrrev_b32_e32 v20, 16, v12
	v_lshrrev_b32_e32 v31, 16, v13
	s_wait_dscnt 0x5
	v_lshrrev_b32_e32 v32, 16, v18
	v_lshrrev_b32_e32 v76, 16, v19
	;; [unrolled: 3-line block ×6, first 2 shown]
	s_wait_dscnt 0x0
	v_lshrrev_b32_e32 v27, 16, v26
.LBB0_7:
	s_wait_alu 0xfffe
	s_or_b32 exec_lo, exec_lo, s0
	s_and_saveexec_b32 s0, vcc_lo
	s_cbranch_execz .LBB0_9
; %bb.8:
	v_mul_f16_e32 v29, v89, v31
	v_mul_f16_e32 v28, v90, v27
	;; [unrolled: 1-line block ×5, first 2 shown]
	v_fmac_f16_e32 v29, v4, v13
	v_fmac_f16_e32 v28, v11, v26
	v_mul_f16_e32 v13, v88, v78
	v_fma_f16 v11, v11, v27, -v64
	v_fma_f16 v27, v4, v31, -v67
	v_mul_f16_e32 v4, v88, v25
	v_sub_f16_e32 v26, v29, v28
	v_fmac_f16_e32 v30, v5, v18
	v_fmac_f16_e32 v13, v10, v25
	v_mul_f16_e32 v67, v87, v18
	v_add_f16_e32 v64, v11, v27
	v_mul_f16_e32 v75, 0xba95, v26
	v_mul_f16_e32 v31, v85, v76
	;; [unrolled: 1-line block ×3, first 2 shown]
	v_sub_f16_e32 v25, v30, v13
	v_fma_f16 v4, v10, v78, -v4
	v_fma_f16 v32, v5, v32, -v67
	v_fmamk_f16 v68, v64, 0x388b, v75
	v_fmac_f16_e32 v31, v6, v19
	v_fmac_f16_e32 v18, v9, v24
	v_mul_f16_e32 v5, v86, v24
	v_mul_f16_e32 v19, v85, v19
	;; [unrolled: 1-line block ×3, first 2 shown]
	v_add_f16_e32 v67, v4, v32
	v_sub_f16_e32 v10, v31, v18
	v_fma_f16 v5, v9, v77, -v5
	v_fma_f16 v19, v6, v76, -v19
	v_add_f16_e32 v6, v20, v68
	v_fmamk_f16 v9, v67, 0xb5ac, v80
	v_mul_f16_e32 v79, 0xb3a8, v10
	v_mul_f16_e32 v24, v74, v33
	v_add_f16_e32 v68, v5, v19
	v_mul_f16_e32 v76, v82, v23
	v_add_f16_e32 v9, v9, v6
	v_mul_f16_e32 v6, v82, v63
	v_fmac_f16_e32 v24, v7, v16
	v_fmamk_f16 v69, v68, 0xbbc4, v79
	v_mul_f16_e32 v74, v74, v16
	v_mul_f16_e32 v16, v73, v35
	v_fmac_f16_e32 v6, v8, v23
	v_mul_f16_e32 v23, v72, v34
	v_add_f16_e32 v69, v69, v9
	v_fma_f16 v8, v8, v63, -v76
	v_fma_f16 v33, v7, v33, -v74
	v_sub_f16_e32 v9, v24, v6
	v_fmac_f16_e32 v23, v0, v17
	v_fmac_f16_e32 v16, v3, v22
	v_mul_f16_e32 v22, v73, v22
	v_mul_f16_e32 v17, v72, v17
	;; [unrolled: 1-line block ×3, first 2 shown]
	v_add_f16_e32 v77, v8, v33
	v_sub_f16_e32 v7, v23, v16
	v_fma_f16 v3, v3, v35, -v22
	v_fma_f16 v35, v0, v34, -v17
	v_sub_f16_e32 v81, v27, v11
	v_fmamk_f16 v0, v77, 0xb9fd, v87
	v_mul_f16_e32 v86, 0x3bf1, v7
	v_mul_f16_e32 v34, v71, v66
	v_add_f16_e32 v72, v3, v35
	v_add_f16_e32 v17, v28, v29
	;; [unrolled: 1-line block ×3, first 2 shown]
	v_mul_f16_e32 v89, 0xba95, v81
	v_sub_f16_e32 v82, v32, v4
	v_fmamk_f16 v69, v72, 0x2fb7, v86
	v_mul_f16_e32 v63, v70, v65
	v_fmac_f16_e32 v34, v2, v15
	v_mul_f16_e32 v15, v71, v15
	v_mul_f16_e32 v90, 0xbb7b, v82
	v_add_f16_e32 v74, v69, v22
	v_fma_f16 v69, v17, 0x388b, -v89
	v_add_f16_e32 v22, v13, v30
	v_sub_f16_e32 v71, v19, v5
	v_fmac_f16_e32 v63, v1, v14
	v_mul_f16_e32 v70, v70, v14
	v_add_f16_e32 v73, v12, v69
	v_fma_f16 v78, v22, 0xb5ac, -v90
	v_add_f16_e32 v14, v18, v31
	v_mul_f16_e32 v91, 0xb3a8, v71
	v_sub_f16_e32 v76, v33, v8
	v_fma_f16 v69, v2, v66, -v15
	v_fma_f16 v70, v1, v65, -v70
	v_add_f16_e32 v1, v78, v73
	v_fma_f16 v15, v14, 0xbbc4, -v91
	v_add_f16_e32 v2, v6, v24
	v_mul_f16_e32 v92, 0x394e, v76
	v_sub_f16_e32 v78, v35, v3
	v_sub_f16_e32 v0, v63, v34
	v_mul_f16_e32 v93, 0xbbf1, v26
	v_add_f16_e32 v1, v15, v1
	v_fma_f16 v65, v2, 0xb9fd, -v92
	v_add_f16_e32 v15, v16, v23
	v_mul_f16_e32 v94, 0x3bf1, v78
	v_mul_f16_e32 v88, 0x3770, v0
	v_add_f16_e32 v73, v69, v70
	v_fmamk_f16 v66, v64, 0x2fb7, v93
	v_mul_f16_e32 v95, 0xb3a8, v25
	v_add_f16_e32 v65, v65, v1
	v_fma_f16 v84, v15, 0x2fb7, -v94
	v_fmamk_f16 v83, v73, 0x3b15, v88
	v_add_f16_e32 v66, v20, v66
	v_fmamk_f16 v85, v67, 0xbbc4, v95
	v_mul_f16_e32 v96, 0x3b7b, v10
	v_add_f16_e32 v65, v84, v65
	v_sub_f16_e32 v84, v70, v69
	v_add_f16_e32 v1, v83, v74
	v_add_f16_e32 v74, v85, v66
	v_fmamk_f16 v83, v68, 0xb5ac, v96
	v_mul_f16_e32 v97, 0x3770, v9
	v_add_f16_e32 v66, v34, v63
	v_mul_f16_e32 v98, 0x3770, v84
	v_mul_f16_e32 v99, 0xbbf1, v81
	v_add_f16_e32 v74, v83, v74
	v_fmamk_f16 v83, v77, 0x3b15, v97
	v_mul_f16_e32 v100, 0xba95, v7
	v_fma_f16 v85, v66, 0x3b15, -v98
	v_fma_f16 v101, v17, 0x2fb7, -v99
	v_mul_f16_e32 v102, 0xb3a8, v82
	v_add_f16_e32 v74, v83, v74
	v_fmamk_f16 v83, v72, 0x388b, v100
	v_add_f16_e32 v65, v85, v65
	v_add_f16_e32 v85, v12, v101
	v_fma_f16 v101, v22, 0xbbc4, -v102
	v_mul_f16_e32 v103, 0x3b7b, v71
	v_add_f16_e32 v74, v83, v74
	v_mul_f16_e32 v109, 0xba95, v78
	v_mul_f16_e32 v112, 0xbb7b, v81
	v_add_f16_e32 v83, v101, v85
	v_fma_f16 v85, v14, 0xb5ac, -v103
	v_mul_f16_e32 v101, 0x3770, v76
	v_mul_f16_e32 v116, 0x394e, v82
	v_fma_f16 v115, v17, 0xb5ac, -v112
	v_mul_f16_e32 v117, 0x3770, v71
	v_add_f16_e32 v83, v85, v83
	v_fma_f16 v85, v2, 0x3b15, -v101
	v_mul_f16_e32 v119, 0xbbf1, v76
	v_mul_f16_e32 v105, 0xbb7b, v26
	;; [unrolled: 1-line block ×4, first 2 shown]
	v_add_f16_e32 v83, v85, v83
	v_fma_f16 v85, v15, 0x388b, -v109
	v_fmamk_f16 v107, v64, 0xb5ac, v105
	v_mul_f16_e32 v108, 0x394e, v25
	v_fmamk_f16 v106, v73, 0xb9fd, v104
	v_mul_f16_e32 v111, 0x3770, v10
	v_add_f16_e32 v85, v85, v83
	v_mul_f16_e32 v83, 0xb94e, v84
	v_add_f16_e32 v107, v20, v107
	v_fmamk_f16 v110, v67, 0xb9fd, v108
	v_mul_f16_e32 v126, 0xb94e, v81
	v_add_f16_e32 v74, v106, v74
	v_fma_f16 v114, v66, 0xb9fd, -v83
	v_mul_f16_e64 v130, 0x3bf1, v82
	v_add_f16_e32 v106, v110, v107
	v_fmamk_f16 v107, v68, 0x3b15, v111
	v_mul_f16_e32 v110, 0xbbf1, v9
	v_add_f16_e32 v85, v114, v85
	v_add_f16_e32 v114, v12, v115
	v_fma_f16 v115, v22, 0xb9fd, -v116
	v_fma_f16 v129, v17, 0xb9fd, -v126
	v_add_f16_e32 v106, v107, v106
	v_fmamk_f16 v107, v77, 0x2fb7, v110
	v_mul_f16_e32 v113, 0x33a8, v7
	v_add_f16_e32 v114, v115, v114
	v_fma_f16 v115, v14, 0x3b15, -v117
	v_mul_f16_e64 v131, 0xba95, v71
	v_add_f16_e32 v106, v107, v106
	v_fmamk_f16 v107, v72, 0xbbc4, v113
	v_mul_f16_e32 v118, 0xb94e, v26
	v_add_f16_e32 v114, v115, v114
	v_fma_f16 v115, v2, 0x2fb7, -v119
	v_mul_f16_e64 v133, 0x33a8, v76
	v_add_f16_e32 v106, v107, v106
	v_mul_f16_e32 v107, 0x3a95, v0
	v_fmamk_f16 v121, v64, 0xb9fd, v118
	v_add_f16_e32 v114, v115, v114
	v_fma_f16 v115, v15, 0xbbc4, -v123
	v_mul_f16_e32 v122, 0x3bf1, v25
	v_mul_f16_e64 v137, 0x3770, v78
	v_fmamk_f16 v120, v73, 0x388b, v107
	v_add_f16_e32 v121, v20, v121
	v_add_f16_e32 v114, v115, v114
	v_mul_f16_e32 v115, 0x3a95, v84
	v_fmamk_f16 v124, v67, 0x2fb7, v122
	v_mul_f16_e32 v125, 0xba95, v10
	v_add_f16_e32 v106, v120, v106
	v_mul_f16_e64 v140, 0xb3a8, v81
	v_fma_f16 v128, v66, 0x388b, -v115
	v_add_f16_e32 v120, v124, v121
	v_fmamk_f16 v121, v68, 0x388b, v125
	v_mul_f16_e32 v124, 0x33a8, v9
	v_mul_f16_e32 v127, 0x3770, v7
	v_add_f16_e64 v114, v128, v114
	v_add_f16_e64 v128, v12, v129
	v_fma_f16 v129, v22, 0x2fb7, -v130
	v_add_f16_e32 v120, v121, v120
	v_fmamk_f16 v121, v77, 0xbbc4, v124
	v_fma_f16 v143, v17, 0xbbc4, -v140
	v_mul_f16_e64 v144, 0x3770, v82
	v_add_f16_e64 v128, v129, v128
	v_fma_f16 v129, v14, 0x388b, -v131
	v_add_f16_e32 v120, v121, v120
	v_fmamk_f16 v121, v72, 0x3b15, v127
	v_mul_f16_e64 v132, 0xb3a8, v26
	v_mul_f16_e64 v145, 0xb94e, v71
	v_add_f16_e64 v128, v129, v128
	v_fma_f16 v129, v2, 0xbbc4, -v133
	v_add_f16_e32 v120, v121, v120
	v_mul_f16_e32 v121, 0xbb7b, v0
	v_fma_f16 v135, 0xbbc4, v64, v132
	v_mul_f16_e64 v136, 0x3770, v25
	v_add_f16_e64 v128, v129, v128
	v_fma_f16 v129, v15, 0x3b15, -v137
	v_fma_f16 v132, v64, 0xbbc4, -v132
	v_mul_f16_e64 v146, 0x3a95, v76
	v_fma_f16 v134, 0xb5ac, v73, v121
	v_add_f16_e64 v135, v20, v135
	v_add_f16_e64 v128, v129, v128
	v_mul_f16_e64 v129, 0xbb7b, v84
	v_fma_f16 v138, 0x3b15, v67, v136
	v_mul_f16_e64 v139, 0xb94e, v10
	v_add_f16_e64 v132, v20, v132
	v_fma_f16 v136, v67, 0x3b15, -v136
	v_fma_f16 v142, v66, 0xb5ac, -v129
	v_mul_f16_e64 v148, 0xbb7b, v78
	v_fma_f16 v75, v64, 0x388b, -v75
	v_add_f16_e64 v120, v134, v120
	v_add_f16_e64 v134, v138, v135
	;; [unrolled: 1-line block ×4, first 2 shown]
	v_fma_f16 v143, v22, 0x3b15, -v144
	v_fma_f16 v135, 0xb9fd, v68, v139
	v_mul_f16_e64 v138, 0x3a95, v9
	v_add_f16_e64 v132, v136, v132
	v_fma_f16 v136, v68, 0xb9fd, -v139
	v_add_f16_e64 v142, v143, v142
	v_fma_f16 v143, v14, 0xb9fd, -v145
	v_fmac_f16_e64 v140, 0xbbc4, v17
	v_add_f16_e32 v75, v20, v75
	v_fma_f16 v80, v67, 0xb5ac, -v80
	v_add_f16_e64 v134, v135, v134
	v_add_f16_e64 v142, v143, v142
	v_fma_f16 v143, v2, 0x388b, -v146
	v_fma_f16 v135, 0x388b, v77, v138
	v_mul_f16_e64 v141, 0xbb7b, v7
	v_add_f16_e64 v132, v136, v132
	v_fma_f16 v136, v77, 0x388b, -v138
	v_add_f16_e64 v139, v143, v142
	v_fma_f16 v142, v15, 0xb5ac, -v148
	v_mul_f16_e64 v143, 0x3bf1, v84
	v_add_f16_e64 v140, v12, v140
	v_fmac_f16_e64 v144, 0x3b15, v22
	v_add_f16_e32 v29, v12, v29
	v_add_f16_e64 v138, v142, v139
	v_fma_f16 v139, v66, 0x2fb7, -v143
	v_add_f16_e32 v27, v27, v20
	v_add_f16_e32 v75, v80, v75
	v_fma_f16 v79, v68, 0xbbc4, -v79
	v_add_f16_e64 v132, v136, v132
	v_fma_f16 v136, v72, 0xb5ac, -v141
	v_add_f16_e64 v138, v139, v138
	;; [unrolled: 2-line block ×3, first 2 shown]
	v_fmac_f16_e64 v145, 0xb9fd, v14
	v_add_f16_e32 v29, v30, v29
	v_add_f16_e32 v27, v32, v27
	v_fma_f16 v105, v64, 0xb5ac, -v105
	v_fma_f16 v93, v64, 0x2fb7, -v93
	v_add_f16_e32 v75, v79, v75
	v_fma_f16 v79, v77, 0xb9fd, -v87
	v_mul_f16_e32 v64, 0x3b15, v64
	v_add_f16_e64 v132, v136, v132
	v_add_f16_e32 v118, v20, v118
	v_fma_f16 v122, v67, 0x2fb7, -v122
	v_add_f16_e64 v136, v145, v139
	v_fmac_f16_e64 v146, 0x388b, v2
	v_fmac_f16_e32 v126, 0xb9fd, v17
	v_add_f16_e32 v29, v31, v29
	v_add_f16_e32 v19, v19, v27
	;; [unrolled: 1-line block ×3, first 2 shown]
	v_fma_f16 v108, v67, 0xb9fd, -v108
	v_add_f16_e32 v93, v20, v93
	v_fma_f16 v95, v67, 0xbbc4, -v95
	v_add_f16_e32 v75, v79, v75
	v_fma_f16 v79, v72, 0x2fb7, -v86
	v_fmamk_f16 v86, v26, 0x3770, v64
	v_mul_f16_e32 v67, 0x388b, v67
	v_add_f16_e32 v118, v122, v118
	v_fma_f16 v122, v68, 0x388b, -v125
	v_add_f16_e64 v125, v146, v136
	v_fmac_f16_e64 v148, 0xb5ac, v15
	v_add_f16_e32 v126, v12, v126
	v_fmac_f16_e64 v130, 0x2fb7, v22
	v_add_f16_e32 v24, v24, v29
	v_add_f16_e32 v19, v33, v19
	;; [unrolled: 1-line block ×3, first 2 shown]
	v_fma_f16 v108, v68, 0x3b15, -v111
	v_add_f16_e32 v93, v95, v93
	v_fma_f16 v95, v68, 0xb5ac, -v96
	v_add_f16_e32 v75, v79, v75
	v_add_f16_e32 v79, v20, v86
	v_fmamk_f16 v86, v25, 0x3a95, v67
	v_mul_f16_e32 v68, 0x2fb7, v68
	v_add_f16_e32 v118, v122, v118
	v_fma_f16 v122, v77, 0xbbc4, -v124
	v_add_f16_e64 v124, v148, v125
	v_add_f16_e64 v125, v130, v126
	v_fmac_f16_e64 v131, 0x388b, v14
	v_add_f16_e32 v23, v23, v24
	v_add_f16_e32 v19, v35, v19
	;; [unrolled: 1-line block ×3, first 2 shown]
	v_fma_f16 v108, v77, 0x2fb7, -v110
	v_add_f16_e32 v93, v95, v93
	v_fma_f16 v95, v77, 0x3b15, -v97
	v_fma_f16 v88, v73, 0x3b15, -v88
	v_add_f16_e32 v79, v86, v79
	v_fmamk_f16 v86, v10, 0x3bf1, v68
	v_mul_f16_e32 v77, 0xb5ac, v77
	v_mul_f16_e32 v81, 0xb770, v81
	v_add_f16_e32 v118, v122, v118
	v_fma_f16 v122, v72, 0x3b15, -v127
	v_add_f16_e64 v125, v131, v125
	v_fmac_f16_e64 v133, 0xbbc4, v2
	v_add_f16_e32 v23, v63, v23
	v_add_f16_e32 v19, v70, v19
	v_fmac_f16_e32 v89, 0x388b, v17
	v_add_f16_e32 v79, v86, v79
	v_fmamk_f16 v86, v9, 0x3b7b, v77
	v_add_f16_e32 v75, v88, v75
	v_fmamk_f16 v88, v17, 0x3b15, v81
	v_mul_f16_e32 v82, 0xba95, v82
	v_add_f16_e32 v118, v122, v118
	v_add_f16_e64 v122, v133, v125
	v_fmac_f16_e64 v137, 0x3b15, v15
	v_fmac_f16_e32 v112, 0xb5ac, v17
	v_fmac_f16_e32 v99, 0x2fb7, v17
	v_add_f16_e32 v23, v34, v23
	v_add_f16_e32 v19, v69, v19
	;; [unrolled: 1-line block ×3, first 2 shown]
	v_fmac_f16_e32 v90, 0xb5ac, v22
	v_add_f16_e32 v79, v86, v79
	v_add_f16_e32 v86, v12, v88
	v_fmamk_f16 v88, v22, 0x388b, v82
	v_mul_f16_e32 v71, 0xbbf1, v71
	v_fmac_f16_e32 v64, 0xb770, v26
	v_fma_f16 v17, v17, 0x3b15, -v81
	v_add_f16_e64 v111, v137, v122
	v_fmac_f16_e64 v129, 0xb5ac, v66
	v_add_f16_e32 v112, v12, v112
	v_fmac_f16_e32 v116, 0xb9fd, v22
	v_add_f16_e32 v97, v12, v99
	v_fmac_f16_e32 v102, 0xbbc4, v22
	v_add_f16_e32 v16, v16, v23
	v_add_f16_e32 v3, v3, v19
	;; [unrolled: 1-line block ×3, first 2 shown]
	v_fmac_f16_e32 v91, 0xbbc4, v14
	v_add_f16_e32 v30, v88, v86
	v_fmamk_f16 v32, v14, 0x2fb7, v71
	v_mul_f16_e32 v76, 0xbb7b, v76
	v_add_f16_e32 v19, v20, v64
	v_fmac_f16_e32 v67, 0xba95, v25
	v_add_f16_e32 v12, v12, v17
	v_fma_f16 v17, v22, 0x388b, -v82
	v_add_f16_e64 v110, v129, v111
	v_add_f16_e32 v111, v116, v112
	v_fmac_f16_e32 v117, 0x3b15, v14
	v_add_f16_e32 v97, v102, v97
	v_fmac_f16_e32 v103, 0xb5ac, v14
	v_add_f16_e32 v6, v6, v16
	v_add_f16_e32 v3, v8, v3
	v_add_f16_e64 v134, v135, v134
	v_fma_f16 v135, 0xb5ac, v72, v141
	v_add_f16_e32 v105, v108, v105
	v_fma_f16 v108, v72, 0xbbc4, -v113
	v_add_f16_e32 v93, v95, v93
	v_fma_f16 v95, v72, 0x388b, -v100
	v_add_f16_e32 v87, v91, v87
	v_fmac_f16_e32 v92, 0xb9fd, v2
	v_mul_f16_e32 v72, 0xb9fd, v72
	v_add_f16_e32 v30, v32, v30
	v_fmamk_f16 v31, v2, 0xb5ac, v76
	v_mul_f16_e32 v29, 0xb94e, v78
	v_add_f16_e32 v8, v67, v19
	v_fmac_f16_e32 v68, 0xbbf1, v10
	v_add_f16_e32 v10, v17, v12
	v_fma_f16 v12, v14, 0x2fb7, -v71
	v_add_f16_e32 v111, v117, v111
	v_fmac_f16_e32 v119, 0x2fb7, v2
	v_add_f16_e32 v97, v103, v97
	v_fmac_f16_e32 v101, 0x3b15, v2
	v_add_f16_e32 v6, v18, v6
	v_add_f16_e32 v3, v5, v3
	;; [unrolled: 1-line block ×3, first 2 shown]
	v_fmac_f16_e32 v94, 0x2fb7, v15
	v_fmamk_f16 v89, v7, 0x394e, v72
	v_mul_f16_e32 v32, 0xbbc4, v73
	v_add_f16_e32 v30, v31, v30
	v_fmamk_f16 v24, v15, 0xb9fd, v29
	v_mul_f16_e32 v31, 0xb3a8, v84
	v_add_f16_e32 v5, v68, v8
	v_fmac_f16_e32 v77, 0xbb7b, v9
	v_add_f16_e32 v8, v12, v10
	v_fma_f16 v2, v2, 0xb5ac, -v76
	v_add_f16_e32 v96, v119, v111
	v_fmac_f16_e32 v123, 0xbbc4, v15
	v_add_f16_e32 v80, v101, v97
	v_fmac_f16_e32 v109, 0x388b, v15
	v_add_f16_e32 v6, v13, v6
	v_add_f16_e32 v3, v4, v3
	v_add_f16_e64 v134, v135, v134
	v_mul_f16_e64 v135, 0x3bf1, v0
	v_add_f16_e32 v87, v94, v87
	v_fmac_f16_e32 v98, 0x3b15, v66
	v_add_f16_e32 v27, v89, v79
	v_fmamk_f16 v33, v0, 0x33a8, v32
	v_add_f16_e32 v24, v24, v30
	v_fmamk_f16 v30, v66, 0xbbc4, v31
	v_add_f16_e32 v4, v77, v5
	v_fmac_f16_e32 v72, 0xb94e, v7
	v_add_f16_e32 v2, v2, v8
	v_fma_f16 v5, v15, 0xb9fd, -v29
	v_add_f16_e32 v105, v108, v105
	v_fma_f16 v107, v73, 0x388b, -v107
	v_add_f16_e32 v96, v123, v96
	v_fmac_f16_e32 v115, 0x388b, v66
	v_add_f16_e32 v93, v95, v93
	v_fma_f16 v95, v73, 0xb9fd, -v104
	v_add_f16_e32 v80, v109, v80
	v_fmac_f16_e32 v83, 0xb9fd, v66
	v_add_f16_e32 v6, v28, v6
	v_add_f16_e32 v3, v11, v3
	v_fma_f16 v147, 0x2fb7, v73, v135
	v_fma_f16 v135, v73, 0x2fb7, -v135
	v_fmac_f16_e64 v143, 0x2fb7, v66
	v_fma_f16 v121, v73, 0xb5ac, -v121
	v_add_f16_e32 v87, v98, v87
	v_add_f16_e32 v27, v33, v27
	;; [unrolled: 1-line block ×4, first 2 shown]
	v_fmac_f16_e32 v32, 0xb3a8, v0
	v_add_f16_e32 v0, v5, v2
	v_fma_f16 v2, v66, 0xbbc4, -v31
	v_add_f16_e32 v105, v107, v105
	v_add_f16_e32 v96, v115, v96
	;; [unrolled: 1-line block ×3, first 2 shown]
	v_pack_b32_f16 v3, v6, v3
	v_add_f16_e32 v8, v83, v80
	v_add_f16_e64 v132, v135, v132
	v_add_f16_e64 v124, v143, v124
	v_add_f16_e32 v118, v121, v118
	v_lshl_add_u32 v5, v53, 2, v62
	v_pack_b32_f16 v6, v24, v27
	v_pack_b32_f16 v7, v87, v75
	v_add_f16_e64 v134, v147, v134
	v_add_f16_e32 v4, v32, v4
	v_add_f16_e32 v0, v2, v0
	ds_store_b32 v46, v3
	ds_store_2addr_b32 v5, v6, v7 offset0:12 offset1:24
	v_pack_b32_f16 v2, v8, v93
	v_pack_b32_f16 v3, v96, v105
	;; [unrolled: 1-line block ×10, first 2 shown]
	ds_store_2addr_b32 v5, v2, v3 offset0:36 offset1:48
	ds_store_2addr_b32 v5, v6, v7 offset0:60 offset1:72
	;; [unrolled: 1-line block ×5, first 2 shown]
.LBB0_9:
	s_wait_alu 0xfffe
	s_or_b32 exec_lo, exec_lo, s0
	global_wb scope:SCOPE_SE
	s_wait_dscnt 0x0
	s_barrier_signal -1
	s_barrier_wait -1
	global_inv scope:SCOPE_SE
	ds_load_2addr_b32 v[4:5], v46 offset1:13
	ds_load_2addr_b32 v[2:3], v46 offset0:52 offset1:65
	ds_load_2addr_b32 v[0:1], v46 offset0:104 offset1:117
	s_mov_b32 s8, 0x1a41a41a
	s_mov_b32 s9, 0x3f7a41a4
	v_mad_co_u64_u32 v[18:19], null, s6, v21, 0
	v_mad_co_u64_u32 v[22:23], null, s4, v53, 0
	s_wait_dscnt 0x2
	v_lshrrev_b32_e32 v6, 16, v4
	v_mul_f16_e32 v7, v61, v4
	s_wait_dscnt 0x1
	v_lshrrev_b32_e32 v8, 16, v2
	v_mul_f16_e32 v9, v60, v2
	s_wait_dscnt 0x0
	v_lshrrev_b32_e32 v16, 16, v0
	v_mul_f16_e32 v10, v61, v6
	v_fma_f16 v7, v55, v6, -v7
	v_mul_f16_e32 v12, v60, v8
	v_fma_f16 v6, v58, v8, -v9
	s_delay_alu instid0(VALU_DEP_4) | instskip(NEXT) | instid1(VALU_DEP_4)
	v_fmac_f16_e32 v10, v55, v4
	v_cvt_f32_f16_e32 v7, v7
	s_delay_alu instid0(VALU_DEP_4) | instskip(NEXT) | instid1(VALU_DEP_4)
	v_fmac_f16_e32 v12, v58, v2
	v_cvt_f32_f16_e32 v4, v6
	v_mul_f16_e32 v2, v59, v16
	v_cvt_f32_f16_e32 v10, v10
	v_cvt_f64_f32_e32 v[6:7], v7
	s_delay_alu instid0(VALU_DEP_4) | instskip(SKIP_1) | instid1(VALU_DEP_4)
	v_cvt_f64_f32_e32 v[8:9], v4
	v_cvt_f32_f16_e32 v4, v12
	v_cvt_f64_f32_e32 v[10:11], v10
	v_fmac_f16_e32 v2, v56, v0
	v_mul_f16_e32 v0, v59, v0
	s_delay_alu instid0(VALU_DEP_4) | instskip(NEXT) | instid1(VALU_DEP_3)
	v_cvt_f64_f32_e32 v[12:13], v4
	v_cvt_f32_f16_e32 v2, v2
	s_delay_alu instid0(VALU_DEP_3) | instskip(NEXT) | instid1(VALU_DEP_2)
	v_fma_f16 v0, v56, v16, -v0
	v_cvt_f64_f32_e32 v[14:15], v2
	s_delay_alu instid0(VALU_DEP_2) | instskip(NEXT) | instid1(VALU_DEP_1)
	v_cvt_f32_f16_e32 v0, v0
	v_cvt_f64_f32_e32 v[16:17], v0
	v_mov_b32_e32 v0, v19
	s_delay_alu instid0(VALU_DEP_1) | instskip(SKIP_1) | instid1(VALU_DEP_2)
	v_mad_co_u64_u32 v[19:20], null, s7, v21, v[0:1]
	v_lshrrev_b32_e32 v0, 16, v5
	v_lshlrev_b64_e32 v[18:19], 2, v[18:19]
	s_wait_alu 0xfffe
	v_mul_f64_e32 v[6:7], s[8:9], v[6:7]
	v_mul_f64_e32 v[8:9], s[8:9], v[8:9]
	;; [unrolled: 1-line block ×6, first 2 shown]
	v_lshrrev_b32_e32 v4, 8, v7
	v_bfe_u32 v25, v9, 20, 11
	v_mov_b32_e32 v2, v23
	v_and_or_b32 v8, 0x1ff, v9, v8
	v_and_or_b32 v10, 0x1ff, v11, v10
	v_bfe_u32 v27, v11, 20, 11
	v_sub_nc_u32_e32 v31, 0x3f1, v25
	v_add_nc_u32_e32 v25, 0xfffffc10, v25
	v_mad_co_u64_u32 v[20:21], null, s5, v53, v[2:3]
	v_mul_f16_e32 v2, v57, v0
	v_and_or_b32 v12, 0x1ff, v13, v12
	v_lshrrev_b32_e32 v26, 8, v11
	v_sub_nc_u32_e32 v34, 0x3f1, v27
	v_and_or_b32 v14, 0x1ff, v15, v14
	v_fmac_f16_e32 v2, v51, v5
	v_mov_b32_e32 v23, v20
	v_add_co_u32 v20, vcc_lo, s2, v18
	s_wait_alu 0xfffd
	v_add_co_ci_u32_e32 v21, vcc_lo, s3, v19, vcc_lo
	v_cvt_f32_f16_e32 v2, v2
	v_lshrrev_b32_e32 v24, 8, v9
	v_lshrrev_b32_e32 v29, 8, v13
	;; [unrolled: 1-line block ×3, first 2 shown]
	v_bfe_u32 v30, v13, 20, 11
	v_cvt_f64_f32_e32 v[18:19], v2
	v_and_or_b32 v2, 0x1ff, v7, v6
	v_bfe_u32 v6, v7, 20, 11
	v_bfe_u32 v33, v15, 20, 11
	v_lshrrev_b32_e32 v11, 16, v11
	v_lshrrev_b32_e32 v13, 16, v13
	v_cmp_ne_u32_e32 vcc_lo, 0, v2
	v_sub_nc_u32_e32 v28, 0x3f1, v6
	v_add_nc_u32_e32 v6, 0xfffffc10, v6
	v_lshrrev_b32_e32 v7, 16, v7
	v_mul_f16_e32 v5, v57, v5
	s_wait_alu 0xfffd
	v_cndmask_b32_e64 v2, 0, 1, vcc_lo
	v_cmp_ne_u32_e32 vcc_lo, 0, v8
	v_lshrrev_b32_e32 v9, 16, v9
	v_lshrrev_b32_e32 v15, 16, v15
	v_fma_f16 v0, v51, v0, -v5
	v_and_or_b32 v2, 0xffe, v4, v2
	s_wait_alu 0xfffd
	v_cndmask_b32_e64 v8, 0, 1, vcc_lo
	v_cmp_ne_u32_e32 vcc_lo, 0, v10
	v_med3_i32 v4, v28, 0, 13
	v_sub_nc_u32_e32 v28, 0x3f1, v30
	v_lshl_or_b32 v35, v6, 12, v2
	v_add_nc_u32_e32 v27, 0xfffffc10, v27
	s_wait_alu 0xfffd
	v_cndmask_b32_e64 v10, 0, 1, vcc_lo
	v_cmp_ne_u32_e32 vcc_lo, 0, v12
	v_and_or_b32 v8, 0xffe, v24, v8
	v_add_nc_u32_e32 v30, 0xfffffc10, v30
	v_med3_i32 v24, v31, 0, 13
	v_and_or_b32 v10, 0xffe, v26, v10
	s_wait_alu 0xfffd
	v_cndmask_b32_e64 v12, 0, 1, vcc_lo
	v_cmp_ne_u32_e32 vcc_lo, 0, v14
	v_med3_i32 v26, v34, 0, 13
	v_or_b32_e32 v34, 0x1000, v2
	v_lshl_or_b32 v55, v27, 12, v10
	v_and_or_b32 v12, 0xffe, v29, v12
	s_wait_alu 0xfffd
	v_cndmask_b32_e64 v14, 0, 1, vcc_lo
	v_cmp_ne_u32_e32 vcc_lo, 0, v2
	v_lshrrev_b32_e32 v56, v4, v34
	v_or_b32_e32 v29, 0x1000, v8
	v_med3_i32 v28, v28, 0, 13
	v_and_or_b32 v14, 0xffe, v32, v14
	s_wait_alu 0xfffd
	v_cndmask_b32_e64 v2, 0, 1, vcc_lo
	v_or_b32_e32 v32, 0x1000, v10
	v_cmp_ne_u32_e32 vcc_lo, 0, v10
	v_lshlrev_b32_e32 v4, v4, v56
	v_or_b32_e32 v58, 0x1000, v12
	v_lshl_or_b32 v59, v30, 12, v12
	v_lshrrev_b32_e32 v61, v26, v32
	s_wait_alu 0xfffd
	v_cndmask_b32_e64 v10, 0, 1, vcc_lo
	v_cmp_ne_u32_e32 vcc_lo, 0, v12
	v_lshrrev_b32_e32 v60, v24, v29
	v_lshrrev_b32_e32 v62, v28, v58
	v_lshlrev_b32_e32 v26, v26, v61
	v_lshl_or_b32 v53, v25, 12, v8
	s_wait_alu 0xfffd
	v_cndmask_b32_e64 v12, 0, 1, vcc_lo
	v_cmp_ne_u32_e32 vcc_lo, v4, v34
	v_lshlrev_b32_e32 v24, v24, v60
	v_lshlrev_b32_e32 v28, v28, v62
	v_lshl_or_b32 v2, v2, 9, 0x7c00
	v_lshl_or_b32 v10, v10, 9, 0x7c00
	s_wait_alu 0xfffd
	v_cndmask_b32_e64 v4, 0, 1, vcc_lo
	v_cmp_ne_u32_e32 vcc_lo, v26, v32
	v_lshl_or_b32 v12, v12, 9, 0x7c00
	v_sub_nc_u32_e32 v31, 0x3f1, v33
	v_and_or_b32 v5, 0x1ff, v17, v16
	v_or_b32_e32 v4, v56, v4
	s_wait_alu 0xfffd
	v_cndmask_b32_e64 v26, 0, 1, vcc_lo
	v_cmp_ne_u32_e32 vcc_lo, v24, v29
	v_cvt_f32_f16_e32 v0, v0
	s_delay_alu instid0(VALU_DEP_3) | instskip(SKIP_3) | instid1(VALU_DEP_2)
	v_or_b32_e32 v26, v61, v26
	s_wait_alu 0xfffd
	v_cndmask_b32_e64 v24, 0, 1, vcc_lo
	v_cmp_ne_u32_e32 vcc_lo, v28, v58
	v_or_b32_e32 v24, v60, v24
	s_wait_alu 0xfffd
	v_cndmask_b32_e64 v28, 0, 1, vcc_lo
	v_cmp_gt_i32_e32 vcc_lo, 1, v6
	s_delay_alu instid0(VALU_DEP_2) | instskip(SKIP_4) | instid1(VALU_DEP_2)
	v_or_b32_e32 v28, v62, v28
	s_wait_alu 0xfffd
	v_cndmask_b32_e32 v4, v35, v4, vcc_lo
	v_cmp_gt_i32_e32 vcc_lo, 1, v27
	s_wait_alu 0xfffd
	v_dual_cndmask_b32 v26, v55, v26 :: v_dual_and_b32 v29, 7, v4
	v_cmp_gt_i32_e32 vcc_lo, 1, v25
	v_lshrrev_b32_e32 v4, 2, v4
	s_delay_alu instid0(VALU_DEP_3) | instskip(NEXT) | instid1(VALU_DEP_4)
	v_cmp_lt_i32_e64 s1, 5, v29
	v_and_b32_e32 v32, 7, v26
	s_wait_alu 0xfffd
	v_cndmask_b32_e32 v24, v53, v24, vcc_lo
	v_cmp_gt_i32_e32 vcc_lo, 1, v30
	v_lshrrev_b32_e32 v26, 2, v26
	v_cmp_eq_u32_e64 s2, 3, v29
	v_cmp_eq_u32_e64 s0, 3, v32
	s_wait_alu 0xfffd
	v_cndmask_b32_e32 v28, v59, v28, vcc_lo
	v_cmp_lt_i32_e32 vcc_lo, 5, v32
	s_delay_alu instid0(VALU_DEP_3)
	s_or_b32 vcc_lo, s0, vcc_lo
	v_cmp_gt_i32_e64 s0, 31, v27
	s_wait_alu 0xfffe
	v_add_co_ci_u32_e32 v26, vcc_lo, 0, v26, vcc_lo
	s_or_b32 vcc_lo, s2, s1
	v_cmp_gt_i32_e64 s1, 31, v6
	s_wait_alu 0xfffe
	v_add_co_ci_u32_e32 v4, vcc_lo, 0, v4, vcc_lo
	v_cndmask_b32_e64 v26, 0x7c00, v26, s0
	s_mul_u64 s[2:3], s[4:5], 0xd0
	s_delay_alu instid0(VALU_DEP_2) | instskip(SKIP_3) | instid1(VALU_DEP_3)
	v_cndmask_b32_e64 v4, 0x7c00, v4, s1
	v_and_b32_e32 v29, 7, v28
	v_lshrrev_b32_e32 v28, 2, v28
	v_cmp_eq_u32_e64 s1, 0x40f, v27
	v_cmp_lt_i32_e32 vcc_lo, 5, v29
	v_cmp_eq_u32_e64 s0, 3, v29
	s_wait_alu 0xf1ff
	s_delay_alu instid0(VALU_DEP_3) | instskip(NEXT) | instid1(VALU_DEP_2)
	v_cndmask_b32_e64 v10, v26, v10, s1
	s_or_b32 vcc_lo, s0, vcc_lo
	v_cmp_eq_u32_e64 s0, 0x40f, v30
	s_wait_alu 0xfffe
	v_add_co_ci_u32_e32 v26, vcc_lo, 0, v28, vcc_lo
	v_cmp_eq_u32_e32 vcc_lo, 0x40f, v6
	s_wait_alu 0xfffd
	v_cndmask_b32_e32 v2, v4, v2, vcc_lo
	v_cmp_gt_i32_e32 vcc_lo, 31, v30
	v_and_or_b32 v4, 0x8000, v11, v10
	v_or_b32_e32 v11, 0x1000, v14
	s_delay_alu instid0(VALU_DEP_4) | instskip(SKIP_4) | instid1(VALU_DEP_2)
	v_and_or_b32 v2, 0x8000, v7, v2
	s_wait_alu 0xfffd
	v_cndmask_b32_e32 v10, 0x7c00, v26, vcc_lo
	v_and_b32_e32 v4, 0xffff, v4
	s_wait_alu 0xf1ff
	v_cndmask_b32_e64 v10, v10, v12, s0
	s_delay_alu instid0(VALU_DEP_2) | instskip(SKIP_1) | instid1(VALU_DEP_3)
	v_lshl_or_b32 v26, v2, 16, v4
	v_med3_i32 v2, v31, 0, 13
	v_and_or_b32 v12, 0x8000, v13, v10
	v_add_nc_u32_e32 v13, 0xfffffc10, v33
	v_and_b32_e32 v6, 7, v24
	v_lshrrev_b32_e32 v4, 2, v24
	v_lshrrev_b32_e32 v10, v2, v11
	s_delay_alu instid0(VALU_DEP_4) | instskip(NEXT) | instid1(VALU_DEP_4)
	v_lshl_or_b32 v16, v13, 12, v14
	v_cmp_lt_i32_e32 vcc_lo, 5, v6
	v_cmp_eq_u32_e64 s0, 3, v6
	s_delay_alu instid0(VALU_DEP_4) | instskip(SKIP_1) | instid1(VALU_DEP_3)
	v_lshlrev_b32_e32 v2, v2, v10
	v_lshlrev_b64_e32 v[6:7], 2, v[22:23]
	s_or_b32 vcc_lo, s0, vcc_lo
	s_wait_alu 0xfffe
	v_add_co_ci_u32_e32 v4, vcc_lo, 0, v4, vcc_lo
	v_cmp_ne_u32_e32 vcc_lo, 0, v8
	s_wait_alu 0xfffd
	v_cndmask_b32_e64 v8, 0, 1, vcc_lo
	v_cmp_gt_i32_e32 vcc_lo, 31, v25
	s_delay_alu instid0(VALU_DEP_2)
	v_lshl_or_b32 v8, v8, 9, 0x7c00
	s_wait_alu 0xfffd
	v_cndmask_b32_e32 v4, 0x7c00, v4, vcc_lo
	v_cmp_ne_u32_e32 vcc_lo, v2, v11
	s_wait_alu 0xfffd
	v_cndmask_b32_e64 v2, 0, 1, vcc_lo
	v_cmp_eq_u32_e32 vcc_lo, 0x40f, v25
	s_delay_alu instid0(VALU_DEP_2)
	v_or_b32_e32 v2, v10, v2
	s_wait_alu 0xfffd
	v_cndmask_b32_e32 v8, v4, v8, vcc_lo
	v_cmp_ne_u32_e32 vcc_lo, 0, v5
	v_cvt_f64_f32_e32 v[10:11], v0
	v_mul_f64_e32 v[4:5], s[8:9], v[18:19]
	v_lshrrev_b32_e32 v0, 8, v17
	v_bfe_u32 v18, v17, 20, 11
	s_wait_alu 0xfffd
	v_cndmask_b32_e64 v22, 0, 1, vcc_lo
	v_cmp_gt_i32_e32 vcc_lo, 1, v13
	v_and_or_b32 v8, 0x8000, v9, v8
	v_and_b32_e32 v9, 0xffff, v12
	v_lshrrev_b32_e32 v17, 16, v17
	v_and_or_b32 v0, 0xffe, v0, v22
	s_wait_alu 0xfffd
	v_cndmask_b32_e32 v2, v16, v2, vcc_lo
	v_sub_nc_u32_e32 v16, 0x3f1, v18
	v_add_co_u32 v6, vcc_lo, v20, v6
	v_or_b32_e32 v19, 0x1000, v0
	s_delay_alu instid0(VALU_DEP_4) | instskip(NEXT) | instid1(VALU_DEP_4)
	v_and_b32_e32 v12, 7, v2
	v_med3_i32 v16, v16, 0, 13
	s_wait_alu 0xfffd
	v_add_co_ci_u32_e32 v7, vcc_lo, v21, v7, vcc_lo
	v_lshrrev_b32_e32 v2, 2, v2
	v_cmp_lt_i32_e32 vcc_lo, 5, v12
	v_cmp_eq_u32_e64 s0, 3, v12
	v_lshrrev_b32_e32 v20, v16, v19
	v_lshl_or_b32 v21, v8, 16, v9
	s_delay_alu instid0(VALU_DEP_3) | instskip(NEXT) | instid1(VALU_DEP_2)
	s_or_b32 vcc_lo, s0, vcc_lo
	v_lshlrev_b32_e32 v8, v16, v20
	s_wait_alu 0xfffe
	v_add_co_ci_u32_e32 v2, vcc_lo, 0, v2, vcc_lo
	v_cmp_ne_u32_e32 vcc_lo, 0, v14
	v_add_nc_u32_e32 v14, 0xfffffc10, v18
	s_wait_alu 0xfffd
	v_cndmask_b32_e64 v9, 0, 1, vcc_lo
	v_cmp_ne_u32_e32 vcc_lo, v8, v19
	s_delay_alu instid0(VALU_DEP_3)
	v_lshl_or_b32 v18, v14, 12, v0
	v_lshrrev_b32_e32 v19, 16, v3
	v_and_or_b32 v4, 0x1ff, v5, v4
	v_lshl_or_b32 v12, v9, 9, 0x7c00
	s_wait_alu 0xfffd
	v_cndmask_b32_e64 v8, 0, 1, vcc_lo
	v_cmp_gt_i32_e32 vcc_lo, 31, v13
	s_delay_alu instid0(VALU_DEP_2)
	v_or_b32_e32 v16, v20, v8
	s_wait_alu 0xfffd
	v_cndmask_b32_e32 v2, 0x7c00, v2, vcc_lo
	v_cmp_eq_u32_e32 vcc_lo, 0x40f, v13
	v_mul_f64_e32 v[8:9], s[8:9], v[10:11]
	v_mul_f16_e32 v10, v54, v19
	v_lshrrev_b32_e32 v11, 8, v5
	s_wait_alu 0xfffd
	v_cndmask_b32_e32 v2, v2, v12, vcc_lo
	v_cmp_gt_i32_e32 vcc_lo, 1, v14
	v_fmac_f16_e32 v10, v50, v3
	v_mul_f16_e32 v3, v54, v3
	s_delay_alu instid0(VALU_DEP_4)
	v_and_or_b32 v15, 0x8000, v15, v2
	s_wait_alu 0xfffd
	v_cndmask_b32_e32 v16, v18, v16, vcc_lo
	v_cmp_ne_u32_e32 vcc_lo, 0, v4
	v_bfe_u32 v18, v5, 20, 11
	v_cvt_f32_f16_e32 v10, v10
	v_and_b32_e32 v15, 0xffff, v15
	v_and_b32_e32 v12, 7, v16
	s_wait_alu 0xfffd
	v_cndmask_b32_e64 v4, 0, 1, vcc_lo
	v_lshrrev_b32_e32 v16, 2, v16
	s_delay_alu instid0(VALU_DEP_3) | instskip(NEXT) | instid1(VALU_DEP_3)
	v_cmp_lt_i32_e32 vcc_lo, 5, v12
	v_and_or_b32 v4, 0xffe, v11, v4
	v_sub_nc_u32_e32 v11, 0x3f1, v18
	v_cmp_eq_u32_e64 s0, 3, v12
	v_add_co_u32 v12, s1, v6, s2
	s_delay_alu instid0(VALU_DEP_4) | instskip(NEXT) | instid1(VALU_DEP_4)
	v_or_b32_e32 v20, 0x1000, v4
	v_med3_i32 v22, v11, 0, 13
	v_cvt_f64_f32_e32 v[10:11], v10
	s_or_b32 vcc_lo, s0, vcc_lo
	v_add_co_ci_u32_e64 v13, s1, s3, v7, s1
	s_wait_alu 0xfffe
	v_add_co_ci_u32_e32 v2, vcc_lo, 0, v16, vcc_lo
	v_lshrrev_b32_e32 v23, v22, v20
	v_cmp_ne_u32_e32 vcc_lo, 0, v0
	s_clause 0x1
	global_store_b32 v[6:7], v26, off
	global_store_b32 v[12:13], v21, off
	v_lshlrev_b32_e32 v16, v22, v23
	s_wait_alu 0xfffd
	v_cndmask_b32_e64 v0, 0, 1, vcc_lo
	v_cmp_gt_i32_e32 vcc_lo, 31, v14
	s_delay_alu instid0(VALU_DEP_2)
	v_lshl_or_b32 v0, v0, 9, 0x7c00
	s_wait_alu 0xfffd
	v_cndmask_b32_e32 v22, 0x7c00, v2, vcc_lo
	v_fma_f16 v2, v50, v19, -v3
	v_and_or_b32 v3, 0x1ff, v9, v8
	v_cmp_ne_u32_e32 vcc_lo, v16, v20
	v_add_nc_u32_e32 v16, 0xfffffc10, v18
	v_lshrrev_b32_e32 v19, 8, v9
	v_cvt_f32_f16_e32 v2, v2
	v_bfe_u32 v20, v9, 20, 11
	s_wait_alu 0xfffd
	v_cndmask_b32_e64 v8, 0, 1, vcc_lo
	v_cmp_ne_u32_e32 vcc_lo, 0, v3
	v_lshrrev_b32_e32 v9, 16, v9
	v_cvt_f64_f32_e32 v[2:3], v2
	s_delay_alu instid0(VALU_DEP_4) | instskip(SKIP_3) | instid1(VALU_DEP_2)
	v_or_b32_e32 v8, v23, v8
	s_wait_alu 0xfffd
	v_cndmask_b32_e64 v18, 0, 1, vcc_lo
	v_cmp_eq_u32_e32 vcc_lo, 0x40f, v14
	v_and_or_b32 v14, 0xffe, v19, v18
	s_wait_alu 0xfffd
	v_cndmask_b32_e32 v0, v22, v0, vcc_lo
	v_lshl_or_b32 v19, v16, 12, v4
	v_cmp_gt_i32_e32 vcc_lo, 1, v16
	v_sub_nc_u32_e32 v18, 0x3f1, v20
	v_or_b32_e32 v22, 0x1000, v14
	v_mul_f64_e32 v[10:11], s[8:9], v[10:11]
	v_and_or_b32 v0, 0x8000, v17, v0
	s_wait_alu 0xfffd
	v_cndmask_b32_e32 v8, v19, v8, vcc_lo
	v_med3_i32 v18, v18, 0, 13
	s_delay_alu instid0(VALU_DEP_3) | instskip(NEXT) | instid1(VALU_DEP_3)
	v_lshl_or_b32 v15, v0, 16, v15
	v_and_b32_e32 v19, 7, v8
	s_delay_alu instid0(VALU_DEP_3) | instskip(SKIP_2) | instid1(VALU_DEP_4)
	v_lshrrev_b32_e32 v17, v18, v22
	v_lshrrev_b32_e32 v0, 2, v8
	v_add_nc_u32_e32 v8, 0xfffffc10, v20
	v_cmp_lt_i32_e32 vcc_lo, 5, v19
	v_cmp_eq_u32_e64 s0, 3, v19
	v_lshlrev_b32_e32 v6, v18, v17
	s_delay_alu instid0(VALU_DEP_4) | instskip(SKIP_1) | instid1(VALU_DEP_4)
	v_lshl_or_b32 v7, v8, 12, v14
	v_lshrrev_b32_e32 v18, 16, v1
	s_or_b32 vcc_lo, s0, vcc_lo
	s_delay_alu instid0(VALU_DEP_3)
	v_cmp_ne_u32_e64 s1, v6, v22
	s_wait_alu 0xfffe
	v_add_co_ci_u32_e32 v0, vcc_lo, 0, v0, vcc_lo
	v_cmp_ne_u32_e32 vcc_lo, 0, v4
	s_wait_alu 0xf1ff
	v_cndmask_b32_e64 v6, 0, 1, s1
	v_mul_f64_e32 v[2:3], s[8:9], v[2:3]
	s_wait_alu 0xfffd
	v_cndmask_b32_e64 v4, 0, 1, vcc_lo
	v_cmp_gt_i32_e32 vcc_lo, 31, v16
	v_or_b32_e32 v6, v17, v6
	s_delay_alu instid0(VALU_DEP_3)
	v_lshl_or_b32 v4, v4, 9, 0x7c00
	s_wait_alu 0xfffd
	v_cndmask_b32_e32 v0, 0x7c00, v0, vcc_lo
	v_cmp_gt_i32_e32 vcc_lo, 1, v8
	s_wait_alu 0xfffd
	v_cndmask_b32_e32 v17, v7, v6, vcc_lo
	v_add_co_u32 v6, vcc_lo, v12, s2
	v_mul_f16_e32 v12, v52, v18
	s_wait_alu 0xfffd
	v_add_co_ci_u32_e32 v7, vcc_lo, s3, v13, vcc_lo
	v_cmp_eq_u32_e32 vcc_lo, 0x40f, v16
	v_and_b32_e32 v13, 7, v17
	v_fmac_f16_e32 v12, v48, v1
	v_lshrrev_b32_e32 v16, 16, v5
	v_mul_f16_e32 v1, v52, v1
	s_wait_alu 0xfffd
	v_cndmask_b32_e32 v0, v0, v4, vcc_lo
	v_and_or_b32 v4, 0x1ff, v11, v10
	v_cvt_f32_f16_e32 v5, v12
	v_cmp_lt_i32_e32 vcc_lo, 5, v13
	v_cmp_eq_u32_e64 s0, 3, v13
	v_lshrrev_b32_e32 v10, 2, v17
	v_cmp_ne_u32_e64 s1, 0, v4
	v_cvt_f64_f32_e32 v[4:5], v5
	v_lshrrev_b32_e32 v13, 8, v11
	s_or_b32 vcc_lo, s0, vcc_lo
	v_bfe_u32 v17, v11, 20, 11
	s_wait_alu 0xfffe
	v_add_co_ci_u32_e32 v10, vcc_lo, 0, v10, vcc_lo
	v_cndmask_b32_e64 v12, 0, 1, s1
	v_cmp_ne_u32_e32 vcc_lo, 0, v14
	v_fma_f16 v1, v48, v18, -v1
	v_and_or_b32 v2, 0x1ff, v3, v2
	v_and_or_b32 v0, 0x8000, v16, v0
	;; [unrolled: 1-line block ×3, first 2 shown]
	s_wait_alu 0xfffd
	v_cndmask_b32_e64 v14, 0, 1, vcc_lo
	v_sub_nc_u32_e32 v12, 0x3f1, v17
	v_cmp_gt_i32_e32 vcc_lo, 31, v8
	v_cvt_f32_f16_e32 v1, v1
	v_lshrrev_b32_e32 v16, 8, v3
	v_lshl_or_b32 v13, v14, 9, 0x7c00
	v_or_b32_e32 v14, 0x1000, v19
	s_wait_alu 0xfffd
	v_cndmask_b32_e32 v10, 0x7c00, v10, vcc_lo
	v_med3_i32 v12, v12, 0, 13
	v_cmp_eq_u32_e32 vcc_lo, 0x40f, v8
	v_bfe_u32 v18, v3, 20, 11
	v_and_b32_e32 v0, 0xffff, v0
	s_movk_i32 s0, 0xfe94
	s_mov_b32 s1, -1
	s_wait_alu 0xfffd
	v_cndmask_b32_e32 v8, v10, v13, vcc_lo
	v_lshrrev_b32_e32 v10, v12, v14
	v_cmp_ne_u32_e32 vcc_lo, 0, v2
	s_wait_alu 0xfffe
	s_mul_u64 s[4:5], s[4:5], s[0:1]
	v_and_or_b32 v13, 0x8000, v9, v8
	v_lshlrev_b32_e32 v12, v12, v10
	s_wait_alu 0xfffd
	v_cndmask_b32_e64 v2, 0, 1, vcc_lo
	v_cvt_f64_f32_e32 v[8:9], v1
	v_lshl_or_b32 v22, v13, 16, v0
	v_cmp_ne_u32_e32 vcc_lo, v12, v14
	v_add_nc_u32_e32 v14, 0xfffffc10, v17
	v_and_or_b32 v16, 0xffe, v16, v2
	v_sub_nc_u32_e32 v2, 0x3f1, v18
	v_mul_f64_e32 v[4:5], s[8:9], v[4:5]
	s_wait_alu 0xfffd
	v_cndmask_b32_e64 v1, 0, 1, vcc_lo
	v_lshl_or_b32 v12, v14, 12, v19
	v_cmp_gt_i32_e32 vcc_lo, 1, v14
	v_or_b32_e32 v17, 0x1000, v16
	v_med3_i32 v20, v2, 0, 13
	v_or_b32_e32 v10, v10, v1
	ds_load_2addr_b32 v[1:2], v46 offset0:26 offset1:39
	v_lshrrev_b32_e32 v21, v20, v17
	s_wait_alu 0xfffd
	v_cndmask_b32_e32 v10, v12, v10, vcc_lo
	s_wait_alu 0xfffe
	v_add_co_u32 v12, vcc_lo, v6, s4
	s_wait_alu 0xfffd
	v_add_co_ci_u32_e32 v13, vcc_lo, s5, v7, vcc_lo
	v_and_b32_e32 v0, 7, v10
	v_lshlrev_b32_e32 v20, v20, v21
	s_delay_alu instid0(VALU_DEP_2) | instskip(SKIP_2) | instid1(VALU_DEP_4)
	v_cmp_lt_i32_e32 vcc_lo, 5, v0
	v_cmp_eq_u32_e64 s0, 3, v0
	v_lshrrev_b32_e32 v0, 2, v10
	v_cmp_ne_u32_e64 s1, v20, v17
	v_add_nc_u32_e32 v17, 0xfffffc10, v18
	s_delay_alu instid0(VALU_DEP_4)
	s_or_b32 vcc_lo, s0, vcc_lo
	s_wait_dscnt 0x0
	v_lshrrev_b32_e32 v18, 16, v1
	s_wait_alu 0xfffe
	v_add_co_ci_u32_e32 v0, vcc_lo, 0, v0, vcc_lo
	v_cndmask_b32_e64 v10, 0, 1, s1
	v_cmp_ne_u32_e32 vcc_lo, 0, v19
	v_lshl_or_b32 v20, v17, 12, v16
	v_mul_f64_e32 v[8:9], s[8:9], v[8:9]
	s_delay_alu instid0(VALU_DEP_4)
	v_or_b32_e32 v10, v21, v10
	v_mul_f16_e32 v21, v49, v18
	s_wait_alu 0xfffd
	v_cndmask_b32_e64 v19, 0, 1, vcc_lo
	v_cmp_gt_i32_e32 vcc_lo, 1, v17
	v_and_or_b32 v4, 0x1ff, v5, v4
	v_fmac_f16_e32 v21, v44, v1
	v_mul_f16_e32 v1, v49, v1
	s_wait_alu 0xfffd
	v_cndmask_b32_e32 v20, v20, v10, vcc_lo
	v_cmp_gt_i32_e32 vcc_lo, 31, v14
	v_lshl_or_b32 v10, v19, 9, 0x7c00
	v_cvt_f32_f16_e32 v21, v21
	v_cmp_ne_u32_e64 s0, 0, v4
	v_and_b32_e32 v19, 7, v20
	s_wait_alu 0xfffd
	v_cndmask_b32_e32 v0, 0x7c00, v0, vcc_lo
	v_cmp_eq_u32_e32 vcc_lo, 0x40f, v14
	v_lshrrev_b32_e32 v14, 16, v11
	s_wait_alu 0xf1ff
	v_cndmask_b32_e64 v4, 0, 1, s0
	v_cmp_eq_u32_e64 s0, 3, v19
	v_fma_f16 v1, v44, v18, -v1
	s_wait_alu 0xfffd
	v_cndmask_b32_e32 v0, v0, v10, vcc_lo
	v_cvt_f64_f32_e32 v[10:11], v21
	v_cmp_lt_i32_e32 vcc_lo, 5, v19
	v_lshrrev_b32_e32 v21, 8, v5
	v_bfe_u32 v19, v5, 20, 11
	v_and_or_b32 v14, 0x8000, v14, v0
	v_lshrrev_b32_e32 v0, 2, v20
	s_or_b32 vcc_lo, s0, vcc_lo
	v_and_or_b32 v20, 0xffe, v21, v4
	v_sub_nc_u32_e32 v4, 0x3f1, v19
	v_add_nc_u32_e32 v19, 0xfffffc10, v19
	s_wait_alu 0xfffe
	v_add_co_ci_u32_e32 v0, vcc_lo, 0, v0, vcc_lo
	v_cmp_ne_u32_e32 vcc_lo, 0, v16
	v_or_b32_e32 v21, 0x1000, v20
	v_med3_i32 v4, v4, 0, 13
	v_and_or_b32 v8, 0x1ff, v9, v8
	v_bfe_u32 v23, v9, 20, 11
	s_wait_alu 0xfffd
	v_cndmask_b32_e64 v16, 0, 1, vcc_lo
	v_cmp_gt_i32_e32 vcc_lo, 31, v17
	v_lshrrev_b32_e32 v18, v4, v21
	v_and_b32_e32 v14, 0xffff, v14
	v_sub_nc_u32_e32 v24, 0x3f1, v23
	v_lshl_or_b32 v16, v16, 9, 0x7c00
	s_wait_alu 0xfffd
	v_cndmask_b32_e32 v0, 0x7c00, v0, vcc_lo
	v_cmp_eq_u32_e32 vcc_lo, 0x40f, v17
	v_lshrrev_b32_e32 v17, 16, v3
	v_med3_i32 v24, v24, 0, 13
	v_lshrrev_b32_e32 v5, 16, v5
	s_wait_alu 0xfffd
	v_cndmask_b32_e32 v16, v0, v16, vcc_lo
	v_cvt_f32_f16_e32 v0, v1
	v_lshlrev_b32_e32 v1, v4, v18
	v_cmp_ne_u32_e32 vcc_lo, 0, v8
	s_delay_alu instid0(VALU_DEP_4) | instskip(NEXT) | instid1(VALU_DEP_4)
	v_and_or_b32 v16, 0x8000, v17, v16
	v_cvt_f64_f32_e32 v[3:4], v0
	v_lshrrev_b32_e32 v0, 8, v9
	s_wait_alu 0xfffd
	v_cndmask_b32_e64 v8, 0, 1, vcc_lo
	v_cmp_ne_u32_e32 vcc_lo, v1, v21
	v_mul_f64_e32 v[10:11], s[8:9], v[10:11]
	v_lshrrev_b32_e32 v9, 16, v9
	s_delay_alu instid0(VALU_DEP_4)
	v_and_or_b32 v8, 0xffe, v0, v8
	s_wait_alu 0xfffd
	v_cndmask_b32_e64 v21, 0, 1, vcc_lo
	v_cmp_gt_i32_e32 vcc_lo, 1, v19
	ds_load_2addr_b32 v[0:1], v46 offset0:78 offset1:91
	s_clause 0x1
	global_store_b32 v[6:7], v15, off
	global_store_b32 v[12:13], v22, off
	v_or_b32_e32 v25, 0x1000, v8
	v_or_b32_e32 v18, v18, v21
	v_lshl_or_b32 v21, v19, 12, v20
	s_wait_alu 0xfffd
	s_delay_alu instid0(VALU_DEP_1) | instskip(SKIP_3) | instid1(VALU_DEP_4)
	v_dual_cndmask_b32 v17, v21, v18 :: v_dual_add_nc_u32 v22, 0xfffffc10, v23
	v_lshrrev_b32_e32 v18, v24, v25
	v_lshl_or_b32 v21, v16, 16, v14
	v_add_co_u32 v6, vcc_lo, v12, s2
	v_and_b32_e32 v14, 7, v17
	s_delay_alu instid0(VALU_DEP_4) | instskip(SKIP_2) | instid1(VALU_DEP_3)
	v_lshlrev_b32_e32 v15, v24, v18
	s_wait_alu 0xfffd
	v_add_co_ci_u32_e32 v7, vcc_lo, s3, v13, vcc_lo
	v_cmp_lt_i32_e32 vcc_lo, 5, v14
	s_delay_alu instid0(VALU_DEP_3)
	v_cmp_ne_u32_e64 s0, v15, v25
	v_lshrrev_b32_e32 v15, 2, v17
	s_wait_dscnt 0x0
	v_lshrrev_b32_e32 v16, 16, v0
	global_store_b32 v[6:7], v21, off
	s_wait_alu 0xf1ff
	v_cndmask_b32_e64 v12, 0, 1, s0
	v_cmp_eq_u32_e64 s0, 3, v14
	v_mul_f16_e32 v14, v47, v16
	s_delay_alu instid0(VALU_DEP_3) | instskip(NEXT) | instid1(VALU_DEP_3)
	v_or_b32_e32 v17, v18, v12
	s_or_b32 vcc_lo, s0, vcc_lo
	v_mul_f64_e32 v[12:13], s[8:9], v[3:4]
	s_wait_alu 0xfffe
	v_add_co_ci_u32_e32 v3, vcc_lo, 0, v15, vcc_lo
	v_lshl_or_b32 v18, v22, 12, v8
	v_cmp_gt_i32_e32 vcc_lo, 1, v22
	v_fmac_f16_e32 v14, v43, v0
	v_and_or_b32 v10, 0x1ff, v11, v10
	v_bfe_u32 v23, v11, 20, 11
	v_mul_f16_e32 v0, v47, v0
	s_wait_alu 0xfffd
	v_cndmask_b32_e32 v15, v18, v17, vcc_lo
	v_cmp_gt_i32_e32 vcc_lo, 31, v19
	v_cvt_f32_f16_e32 v4, v14
	v_lshrrev_b32_e32 v18, 8, v11
	v_fma_f16 v0, v43, v16, -v0
	v_and_b32_e32 v17, 7, v15
	s_wait_alu 0xfffd
	v_cndmask_b32_e32 v14, 0x7c00, v3, vcc_lo
	v_cmp_ne_u32_e32 vcc_lo, 0, v10
	v_cvt_f64_f32_e32 v[3:4], v4
	v_lshrrev_b32_e32 v15, 2, v15
	v_cmp_eq_u32_e64 s0, 3, v17
	v_cvt_f32_f16_e32 v0, v0
	s_wait_alu 0xfffd
	v_cndmask_b32_e64 v10, 0, 1, vcc_lo
	v_cmp_ne_u32_e32 vcc_lo, 0, v20
	v_lshrrev_b32_e32 v11, 16, v11
	s_delay_alu instid0(VALU_DEP_3)
	v_and_or_b32 v10, 0xffe, v18, v10
	s_wait_alu 0xfffd
	v_cndmask_b32_e64 v20, 0, 1, vcc_lo
	v_cmp_lt_i32_e32 vcc_lo, 5, v17
	v_sub_nc_u32_e32 v18, 0x3f1, v23
	v_add_nc_u32_e32 v23, 0xfffffc10, v23
	s_delay_alu instid0(VALU_DEP_4)
	v_lshl_or_b32 v17, v20, 9, 0x7c00
	s_or_b32 vcc_lo, s0, vcc_lo
	v_or_b32_e32 v20, 0x1000, v10
	s_wait_alu 0xfffe
	v_add_co_ci_u32_e32 v15, vcc_lo, 0, v15, vcc_lo
	v_med3_i32 v18, v18, 0, 13
	v_cmp_eq_u32_e32 vcc_lo, 0x40f, v19
	v_and_or_b32 v12, 0x1ff, v13, v12
	v_bfe_u32 v26, v13, 20, 11
	s_delay_alu instid0(VALU_DEP_4)
	v_lshrrev_b32_e32 v24, v18, v20
	s_wait_alu 0xfffd
	v_cndmask_b32_e32 v19, v14, v17, vcc_lo
	v_cmp_gt_i32_e32 vcc_lo, 31, v22
	v_cvt_f64_f32_e32 v[16:17], v0
	v_lshlrev_b32_e32 v14, v18, v24
	s_delay_alu instid0(VALU_DEP_4) | instskip(SKIP_3) | instid1(VALU_DEP_3)
	v_and_or_b32 v5, 0x8000, v5, v19
	s_wait_alu 0xfffd
	v_cndmask_b32_e32 v25, 0x7c00, v15, vcc_lo
	v_cmp_ne_u32_e32 vcc_lo, 0, v8
	v_and_b32_e32 v5, 0xffff, v5
	s_wait_alu 0xfffd
	v_cndmask_b32_e64 v8, 0, 1, vcc_lo
	v_cmp_ne_u32_e32 vcc_lo, v14, v20
	v_lshrrev_b32_e32 v20, 8, v13
	v_mul_f64_e32 v[14:15], s[8:9], v[3:4]
	v_sub_nc_u32_e32 v3, 0x3f1, v26
	v_lshl_or_b32 v4, v8, 9, 0x7c00
	s_wait_alu 0xfffd
	v_cndmask_b32_e64 v18, 0, 1, vcc_lo
	v_cmp_ne_u32_e32 vcc_lo, 0, v12
	s_delay_alu instid0(VALU_DEP_2) | instskip(SKIP_3) | instid1(VALU_DEP_2)
	v_or_b32_e32 v8, v24, v18
	s_wait_alu 0xfffd
	v_cndmask_b32_e64 v12, 0, 1, vcc_lo
	v_cmp_eq_u32_e32 vcc_lo, 0x40f, v22
	v_and_or_b32 v0, 0xffe, v20, v12
	v_lshl_or_b32 v12, v23, 12, v10
	s_wait_alu 0xfffd
	v_cndmask_b32_e32 v22, v25, v4, vcc_lo
	v_cmp_gt_i32_e32 vcc_lo, 1, v23
	v_med3_i32 v20, v3, 0, 13
	v_or_b32_e32 v18, 0x1000, v0
	ds_load_2addr_b32 v[3:4], v46 offset0:130 offset1:143
	v_and_or_b32 v21, 0x8000, v9, v22
	s_wait_alu 0xfffd
	v_cndmask_b32_e32 v8, v12, v8, vcc_lo
	v_lshrrev_b32_e32 v12, v20, v18
	s_delay_alu instid0(VALU_DEP_3) | instskip(NEXT) | instid1(VALU_DEP_3)
	v_lshl_or_b32 v21, v21, 16, v5
	v_and_b32_e32 v19, 7, v8
	v_lshrrev_b32_e32 v8, 2, v8
	s_delay_alu instid0(VALU_DEP_4) | instskip(NEXT) | instid1(VALU_DEP_3)
	v_lshlrev_b32_e32 v9, v20, v12
	v_cmp_lt_i32_e32 vcc_lo, 5, v19
	v_cmp_eq_u32_e64 s0, 3, v19
	s_delay_alu instid0(VALU_DEP_3) | instskip(SKIP_1) | instid1(VALU_DEP_3)
	v_cmp_ne_u32_e64 s1, v9, v18
	v_add_nc_u32_e32 v18, 0xfffffc10, v26
	s_or_b32 vcc_lo, s0, vcc_lo
	s_delay_alu instid0(VALU_DEP_2)
	v_cndmask_b32_e64 v9, 0, 1, s1
	s_wait_alu 0xfffe
	v_add_co_ci_u32_e32 v19, vcc_lo, 0, v8, vcc_lo
	v_cmp_ne_u32_e32 vcc_lo, 0, v10
	v_and_or_b32 v14, 0x1ff, v15, v14
	v_or_b32_e32 v8, v12, v9
	v_lshl_or_b32 v9, v18, 12, v0
	s_wait_dscnt 0x0
	v_lshrrev_b32_e32 v12, 16, v3
	s_wait_alu 0xfffd
	v_cndmask_b32_e64 v10, 0, 1, vcc_lo
	v_cmp_gt_i32_e32 vcc_lo, 1, v18
	v_cmp_eq_u32_e64 s1, 0x40f, v23
	v_lshrrev_b32_e32 v22, 8, v15
	v_bfe_u32 v24, v15, 20, 11
	v_lshl_or_b32 v10, v10, 9, 0x7c00
	s_wait_alu 0xfffd
	v_cndmask_b32_e32 v20, v9, v8, vcc_lo
	v_mul_f64_e32 v[8:9], s[8:9], v[16:17]
	v_mul_f16_e32 v16, v45, v12
	v_cmp_gt_i32_e32 vcc_lo, 31, v23
	v_lshrrev_b32_e32 v15, 16, v15
	v_and_b32_e32 v17, 7, v20
	s_delay_alu instid0(VALU_DEP_4)
	v_fmac_f16_e32 v16, v41, v3
	s_wait_alu 0xfffd
	v_cndmask_b32_e32 v19, 0x7c00, v19, vcc_lo
	v_cmp_ne_u32_e32 vcc_lo, 0, v14
	v_cmp_eq_u32_e64 s0, 3, v17
	v_mul_f16_e32 v3, v45, v3
	v_cvt_f32_f16_e32 v16, v16
	s_wait_alu 0xf1ff
	v_cndmask_b32_e64 v10, v19, v10, s1
	s_wait_alu 0xfffd
	v_cndmask_b32_e64 v14, 0, 1, vcc_lo
	v_cmp_lt_i32_e32 vcc_lo, 5, v17
	v_lshrrev_b32_e32 v19, 2, v20
	v_cvt_f64_f32_e32 v[16:17], v16
	v_and_or_b32 v25, 0x8000, v11, v10
	v_and_or_b32 v14, 0xffe, v22, v14
	v_sub_nc_u32_e32 v22, 0x3f1, v24
	s_or_b32 vcc_lo, s0, vcc_lo
	v_fma_f16 v3, v41, v12, -v3
	s_wait_alu 0xfffe
	v_add_co_ci_u32_e32 v19, vcc_lo, 0, v19, vcc_lo
	v_or_b32_e32 v20, 0x1000, v14
	v_med3_i32 v22, v22, 0, 13
	v_cmp_ne_u32_e32 vcc_lo, 0, v0
	v_cvt_f32_f16_e32 v3, v3
	s_delay_alu instid0(VALU_DEP_3) | instskip(SKIP_3) | instid1(VALU_DEP_3)
	v_lshrrev_b32_e32 v23, v22, v20
	s_wait_alu 0xfffd
	v_cndmask_b32_e64 v0, 0, 1, vcc_lo
	v_cmp_gt_i32_e32 vcc_lo, 31, v18
	v_lshlrev_b32_e32 v10, v22, v23
	s_delay_alu instid0(VALU_DEP_3)
	v_lshl_or_b32 v0, v0, 9, 0x7c00
	s_wait_alu 0xfffd
	v_cndmask_b32_e32 v19, 0x7c00, v19, vcc_lo
	v_cmp_eq_u32_e32 vcc_lo, 0x40f, v18
	v_and_or_b32 v8, 0x1ff, v9, v8
	v_add_nc_u32_e32 v18, 0xfffffc10, v24
	v_lshrrev_b32_e32 v22, 16, v13
	s_wait_alu 0xfffd
	v_cndmask_b32_e32 v0, v19, v0, vcc_lo
	v_cmp_ne_u32_e32 vcc_lo, v10, v20
	v_cvt_f64_f32_e32 v[10:11], v3
	v_lshrrev_b32_e32 v19, 8, v9
	v_bfe_u32 v20, v9, 20, 11
	v_and_or_b32 v0, 0x8000, v22, v0
	s_wait_alu 0xfffd
	v_cndmask_b32_e64 v12, 0, 1, vcc_lo
	v_cmp_ne_u32_e32 vcc_lo, 0, v8
	s_delay_alu instid0(VALU_DEP_2) | instskip(SKIP_4) | instid1(VALU_DEP_3)
	v_or_b32_e32 v3, v23, v12
	s_wait_alu 0xfffd
	v_cndmask_b32_e64 v8, 0, 1, vcc_lo
	v_lshl_or_b32 v12, v18, 12, v14
	v_cmp_gt_i32_e32 vcc_lo, 1, v18
	v_and_or_b32 v19, 0xffe, v19, v8
	v_sub_nc_u32_e32 v8, 0x3f1, v20
	s_wait_alu 0xfffd
	v_cndmask_b32_e32 v3, v12, v3, vcc_lo
	v_mul_f64_e32 v[12:13], s[8:9], v[16:17]
	v_add_co_u32 v5, vcc_lo, v6, s2
	v_or_b32_e32 v16, 0x1000, v19
	v_med3_i32 v8, v8, 0, 13
	v_and_b32_e32 v22, 7, v3
	s_wait_alu 0xfffd
	v_add_co_ci_u32_e32 v6, vcc_lo, s3, v7, vcc_lo
	v_lshrrev_b32_e32 v3, 2, v3
	v_lshrrev_b32_e32 v23, v8, v16
	v_cmp_lt_i32_e32 vcc_lo, 5, v22
	v_cmp_eq_u32_e64 s0, 3, v22
	v_lshrrev_b32_e32 v22, 16, v2
	v_and_b32_e32 v17, 0xffff, v25
	v_lshlrev_b32_e32 v7, v8, v23
	v_add_nc_u32_e32 v20, 0xfffffc10, v20
	s_or_b32 vcc_lo, s0, vcc_lo
	s_wait_alu 0xfffe
	v_add_co_ci_u32_e32 v3, vcc_lo, 0, v3, vcc_lo
	v_cmp_ne_u32_e64 s1, v7, v16
	v_mul_f16_e32 v16, v42, v22
	v_cmp_ne_u32_e32 vcc_lo, 0, v14
	v_lshl_or_b32 v0, v0, 16, v17
	s_wait_alu 0xf1ff
	v_cndmask_b32_e64 v7, 0, 1, s1
	v_fmac_f16_e32 v16, v39, v2
	s_wait_alu 0xfffd
	v_cndmask_b32_e64 v14, 0, 1, vcc_lo
	v_cmp_gt_i32_e32 vcc_lo, 1, v20
	v_or_b32_e32 v17, v23, v7
	v_mul_f64_e32 v[7:8], s[8:9], v[10:11]
	v_lshl_or_b32 v23, v20, 12, v19
	v_cvt_f32_f16_e32 v10, v16
	v_lshl_or_b32 v14, v14, 9, 0x7c00
	s_wait_alu 0xfffd
	s_delay_alu instid0(VALU_DEP_3) | instskip(SKIP_3) | instid1(VALU_DEP_4)
	v_cndmask_b32_e32 v23, v23, v17, vcc_lo
	v_cmp_gt_i32_e32 vcc_lo, 31, v18
	v_and_or_b32 v12, 0x1ff, v13, v12
	v_cvt_f64_f32_e32 v[10:11], v10
	v_and_b32_e32 v24, 7, v23
	s_wait_alu 0xfffd
	v_cndmask_b32_e32 v3, 0x7c00, v3, vcc_lo
	v_add_co_u32 v16, vcc_lo, v5, s4
	s_wait_alu 0xfffd
	v_add_co_ci_u32_e32 v17, vcc_lo, s5, v6, vcc_lo
	v_cmp_eq_u32_e32 vcc_lo, 0x40f, v18
	v_cmp_ne_u32_e64 s0, 0, v12
	v_lshrrev_b32_e32 v23, 2, v23
	v_bfe_u32 v18, v13, 20, 11
	global_store_b32 v[5:6], v21, off
	global_store_b32 v[16:17], v0, off
	s_wait_alu 0xfffd
	v_cndmask_b32_e32 v3, v3, v14, vcc_lo
	v_cmp_lt_i32_e32 vcc_lo, 5, v24
	s_wait_alu 0xf1ff
	v_cndmask_b32_e64 v12, 0, 1, s0
	v_cmp_eq_u32_e64 s0, 3, v24
	v_lshrrev_b32_e32 v14, 8, v13
	v_and_or_b32 v15, 0x8000, v15, v3
	v_lshrrev_b32_e32 v13, 16, v13
	s_delay_alu instid0(VALU_DEP_4) | instskip(NEXT) | instid1(VALU_DEP_3)
	s_or_b32 vcc_lo, s0, vcc_lo
	v_and_or_b32 v14, 0xffe, v14, v12
	s_wait_alu 0xfffe
	v_add_co_ci_u32_e32 v23, vcc_lo, 0, v23, vcc_lo
	v_sub_nc_u32_e32 v12, 0x3f1, v18
	v_cmp_ne_u32_e32 vcc_lo, 0, v19
	v_or_b32_e32 v24, 0x1000, v14
	v_add_nc_u32_e32 v18, 0xfffffc10, v18
	v_and_or_b32 v3, 0x1ff, v8, v7
	v_med3_i32 v12, v12, 0, 13
	s_wait_alu 0xfffd
	v_cndmask_b32_e64 v19, 0, 1, vcc_lo
	v_cmp_gt_i32_e32 vcc_lo, 31, v20
	v_bfe_u32 v26, v8, 20, 11
	v_and_b32_e32 v15, 0xffff, v15
	v_lshrrev_b32_e32 v25, v12, v24
	v_lshl_or_b32 v19, v19, 9, 0x7c00
	s_wait_alu 0xfffd
	v_cndmask_b32_e32 v23, 0x7c00, v23, vcc_lo
	v_cmp_eq_u32_e32 vcc_lo, 0x40f, v20
	v_cmp_eq_u32_e64 s1, 0x40f, v18
	s_wait_alu 0xfffd
	s_delay_alu instid0(VALU_DEP_3)
	v_cndmask_b32_e32 v7, v23, v19, vcc_lo
	v_lshrrev_b32_e32 v19, 16, v9
	v_lshlrev_b32_e32 v9, v12, v25
	v_mul_f16_e32 v12, v42, v2
	v_cmp_ne_u32_e32 vcc_lo, 0, v3
	v_lshrrev_b32_e32 v23, 8, v8
	v_mul_f64_e32 v[2:3], s[8:9], v[10:11]
	v_sub_nc_u32_e32 v11, 0x3f1, v26
	v_fma_f16 v10, v39, v22, -v12
	s_wait_alu 0xfffd
	v_cndmask_b32_e64 v20, 0, 1, vcc_lo
	v_cmp_ne_u32_e32 vcc_lo, v9, v24
	v_lshl_or_b32 v22, v18, 12, v14
	v_med3_i32 v11, v11, 0, 13
	v_cvt_f32_f16_e32 v10, v10
	v_and_or_b32 v20, 0xffe, v23, v20
	s_wait_alu 0xfffd
	v_cndmask_b32_e64 v9, 0, 1, vcc_lo
	v_and_or_b32 v7, 0x8000, v19, v7
	v_cmp_gt_i32_e32 vcc_lo, 1, v18
	v_lshrrev_b32_e32 v8, 16, v8
	v_or_b32_e32 v23, 0x1000, v20
	v_or_b32_e32 v12, v25, v9
	v_cvt_f64_f32_e32 v[9:10], v10
	v_lshl_or_b32 v15, v7, 16, v15
	s_delay_alu instid0(VALU_DEP_4)
	v_lshrrev_b32_e32 v19, v11, v23
	s_wait_alu 0xfffd
	v_cndmask_b32_e32 v12, v22, v12, vcc_lo
	v_add_co_u32 v5, vcc_lo, v16, s2
	v_lshrrev_b32_e32 v16, 16, v1
	v_lshlrev_b32_e32 v7, v11, v19
	s_delay_alu instid0(VALU_DEP_4)
	v_and_b32_e32 v0, 7, v12
	s_wait_alu 0xfffd
	v_add_co_ci_u32_e32 v6, vcc_lo, s3, v17, vcc_lo
	v_mul_f16_e32 v11, v40, v16
	v_cmp_ne_u32_e64 s0, v7, v23
	v_cmp_lt_i32_e32 vcc_lo, 5, v0
	v_add_nc_u32_e32 v17, 0xfffffc10, v26
	s_delay_alu instid0(VALU_DEP_4)
	v_fmac_f16_e32 v11, v37, v1
	s_wait_alu 0xf1ff
	v_cndmask_b32_e64 v7, 0, 1, s0
	v_cmp_eq_u32_e64 s0, 3, v0
	v_lshrrev_b32_e32 v0, 2, v12
	v_lshl_or_b32 v12, v17, 12, v20
	v_cvt_f32_f16_e32 v11, v11
	v_or_b32_e32 v7, v19, v7
	s_or_b32 vcc_lo, s0, vcc_lo
	v_and_or_b32 v2, 0x1ff, v3, v2
	s_wait_alu 0xfffe
	v_add_co_ci_u32_e32 v0, vcc_lo, 0, v0, vcc_lo
	v_cmp_gt_i32_e32 vcc_lo, 1, v17
	v_lshrrev_b32_e32 v19, 8, v3
	v_bfe_u32 v21, v3, 20, 11
	s_wait_alu 0xfffd
	v_cndmask_b32_e32 v7, v12, v7, vcc_lo
	v_cmp_ne_u32_e32 vcc_lo, 0, v2
	v_cvt_f64_f32_e32 v[11:12], v11
	v_mul_f64_e32 v[9:10], s[8:9], v[9:10]
	s_wait_alu 0xfffd
	v_cndmask_b32_e64 v2, 0, 1, vcc_lo
	v_cmp_ne_u32_e32 vcc_lo, 0, v14
	v_and_b32_e32 v22, 7, v7
	v_lshrrev_b32_e32 v7, 2, v7
	s_delay_alu instid0(VALU_DEP_4)
	v_and_or_b32 v2, 0xffe, v19, v2
	s_wait_alu 0xfffd
	v_cndmask_b32_e64 v14, 0, 1, vcc_lo
	v_cmp_gt_i32_e32 vcc_lo, 31, v18
	v_sub_nc_u32_e32 v19, 0x3f1, v21
	v_cmp_eq_u32_e64 s0, 3, v22
	v_or_b32_e32 v23, 0x1000, v2
	v_lshl_or_b32 v14, v14, 9, 0x7c00
	s_wait_alu 0xfffd
	v_cndmask_b32_e32 v0, 0x7c00, v0, vcc_lo
	v_cmp_lt_i32_e32 vcc_lo, 5, v22
	v_med3_i32 v19, v19, 0, 13
	s_delay_alu instid0(VALU_DEP_3) | instskip(SKIP_1) | instid1(VALU_DEP_2)
	v_cndmask_b32_e64 v0, v0, v14, s1
	s_or_b32 vcc_lo, s0, vcc_lo
	v_lshrrev_b32_e32 v14, v19, v23
	s_wait_alu 0xfffe
	v_add_co_ci_u32_e32 v7, vcc_lo, 0, v7, vcc_lo
	v_cmp_ne_u32_e32 vcc_lo, 0, v20
	v_add_nc_u32_e32 v20, 0xfffffc10, v21
	v_lshlrev_b32_e32 v19, v19, v14
	v_and_or_b32 v13, 0x8000, v13, v0
	s_wait_alu 0xfffd
	v_cndmask_b32_e64 v18, 0, 1, vcc_lo
	v_cmp_gt_i32_e32 vcc_lo, 31, v17
	s_delay_alu instid0(VALU_DEP_3) | instskip(NEXT) | instid1(VALU_DEP_3)
	v_and_b32_e32 v13, 0xffff, v13
	v_lshl_or_b32 v18, v18, 9, 0x7c00
	s_wait_alu 0xfffd
	v_cndmask_b32_e32 v7, 0x7c00, v7, vcc_lo
	v_cmp_ne_u32_e32 vcc_lo, v19, v23
	v_and_or_b32 v9, 0x1ff, v10, v9
	s_wait_alu 0xfffd
	v_cndmask_b32_e64 v19, 0, 1, vcc_lo
	v_cmp_eq_u32_e32 vcc_lo, 0x40f, v17
	v_mul_f16_e32 v17, v40, v1
	v_mul_f64_e32 v[0:1], s[8:9], v[11:12]
	v_lshl_or_b32 v11, v20, 12, v2
	v_or_b32_e32 v14, v14, v19
	s_wait_alu 0xfffd
	v_cndmask_b32_e32 v7, v7, v18, vcc_lo
	v_cmp_gt_i32_e32 vcc_lo, 1, v20
	v_fma_f16 v12, v37, v16, -v17
	v_bfe_u32 v16, v10, 20, 11
	s_delay_alu instid0(VALU_DEP_4)
	v_and_or_b32 v17, 0x8000, v8, v7
	s_wait_alu 0xfffd
	v_cndmask_b32_e32 v11, v11, v14, vcc_lo
	v_cmp_ne_u32_e32 vcc_lo, 0, v9
	v_cvt_f32_f16_e32 v12, v12
	v_lshrrev_b32_e32 v14, 8, v10
	v_lshl_or_b32 v17, v17, 16, v13
	v_and_b32_e32 v18, 7, v11
	s_wait_alu 0xfffd
	v_cndmask_b32_e64 v9, 0, 1, vcc_lo
	v_cvt_f64_f32_e32 v[7:8], v12
	v_sub_nc_u32_e32 v12, 0x3f1, v16
	v_lshrrev_b32_e32 v11, 2, v11
	v_cmp_lt_i32_e32 vcc_lo, 5, v18
	v_and_or_b32 v9, 0xffe, v14, v9
	v_cmp_eq_u32_e64 s0, 3, v18
	v_lshrrev_b32_e32 v14, 16, v4
	v_med3_i32 v12, v12, 0, 13
	v_add_nc_u32_e32 v16, 0xfffffc10, v16
	v_or_b32_e32 v19, 0x1000, v9
	s_or_b32 vcc_lo, s0, vcc_lo
	v_mul_f16_e32 v21, v38, v14
	s_wait_alu 0xfffe
	v_add_co_ci_u32_e32 v11, vcc_lo, 0, v11, vcc_lo
	v_lshrrev_b32_e32 v13, v12, v19
	v_cmp_ne_u32_e32 vcc_lo, 0, v2
	v_fmac_f16_e32 v21, v36, v4
	v_mul_f16_e32 v4, v38, v4
	s_delay_alu instid0(VALU_DEP_4)
	v_lshlrev_b32_e32 v18, v12, v13
	s_wait_alu 0xfffd
	v_cndmask_b32_e64 v2, 0, 1, vcc_lo
	v_cmp_gt_i32_e32 vcc_lo, 31, v20
	v_cvt_f32_f16_e32 v12, v21
	v_and_or_b32 v0, 0x1ff, v1, v0
	v_fma_f16 v4, v36, v14, -v4
	v_lshl_or_b32 v14, v16, 12, v9
	s_wait_alu 0xfffd
	v_cndmask_b32_e32 v21, 0x7c00, v11, vcc_lo
	v_cmp_ne_u32_e32 vcc_lo, v18, v19
	v_cvt_f64_f32_e32 v[11:12], v12
	v_lshrrev_b32_e32 v19, 8, v1
	v_cvt_f32_f16_e32 v4, v4
	v_lshl_or_b32 v2, v2, 9, 0x7c00
	s_wait_alu 0xfffd
	v_cndmask_b32_e64 v18, 0, 1, vcc_lo
	v_cmp_ne_u32_e32 vcc_lo, 0, v0
	s_delay_alu instid0(VALU_DEP_2)
	v_or_b32_e32 v13, v13, v18
	s_wait_alu 0xfffd
	v_cndmask_b32_e64 v0, 0, 1, vcc_lo
	v_bfe_u32 v18, v1, 20, 11
	v_cmp_gt_i32_e32 vcc_lo, 1, v16
	v_mul_f64_e32 v[7:8], s[8:9], v[7:8]
	v_lshrrev_b32_e32 v1, 16, v1
	v_and_or_b32 v0, 0xffe, v19, v0
	v_sub_nc_u32_e32 v19, 0x3f1, v18
	v_add_nc_u32_e32 v18, 0xfffffc10, v18
	s_delay_alu instid0(VALU_DEP_3) | instskip(NEXT) | instid1(VALU_DEP_3)
	v_or_b32_e32 v23, 0x1000, v0
	v_med3_i32 v19, v19, 0, 13
	s_delay_alu instid0(VALU_DEP_1)
	v_lshrrev_b32_e32 v24, v19, v23
	s_wait_alu 0xfffd
	v_cndmask_b32_e32 v22, v14, v13, vcc_lo
	v_cmp_eq_u32_e32 vcc_lo, 0x40f, v20
	v_cvt_f64_f32_e32 v[13:14], v4
	v_lshrrev_b32_e32 v20, 16, v3
	s_wait_alu 0xfffd
	v_dual_cndmask_b32 v4, v21, v2 :: v_dual_lshlrev_b32 v19, v19, v24
	v_and_b32_e32 v21, 7, v22
	v_add_co_u32 v2, vcc_lo, v5, s2
	s_wait_alu 0xfffd
	v_add_co_ci_u32_e32 v3, vcc_lo, s3, v6, vcc_lo
	s_delay_alu instid0(VALU_DEP_3)
	v_cmp_lt_i32_e32 vcc_lo, 5, v21
	v_cmp_eq_u32_e64 s0, 3, v21
	v_and_or_b32 v4, 0x8000, v20, v4
	v_lshrrev_b32_e32 v20, 2, v22
	v_cmp_ne_u32_e64 s1, v19, v23
	v_mul_f64_e32 v[11:12], s[8:9], v[11:12]
	s_or_b32 vcc_lo, s0, vcc_lo
	v_lshl_or_b32 v21, v18, 12, v0
	s_wait_alu 0xfffe
	v_add_co_ci_u32_e32 v20, vcc_lo, 0, v20, vcc_lo
	v_cmp_ne_u32_e32 vcc_lo, 0, v9
	v_cndmask_b32_e64 v19, 0, 1, s1
	v_and_or_b32 v7, 0x1ff, v8, v7
	v_and_b32_e32 v4, 0xffff, v4
	v_lshrrev_b32_e32 v22, 8, v8
	s_wait_alu 0xfffd
	v_cndmask_b32_e64 v9, 0, 1, vcc_lo
	v_cmp_gt_i32_e32 vcc_lo, 31, v16
	v_or_b32_e32 v19, v24, v19
	s_delay_alu instid0(VALU_DEP_3)
	v_lshl_or_b32 v9, v9, 9, 0x7c00
	s_wait_alu 0xfffd
	v_cndmask_b32_e32 v20, 0x7c00, v20, vcc_lo
	v_cmp_gt_i32_e32 vcc_lo, 1, v18
	s_wait_alu 0xfffd
	v_cndmask_b32_e32 v19, v21, v19, vcc_lo
	v_cmp_eq_u32_e32 vcc_lo, 0x40f, v16
	s_wait_alu 0xfffd
	s_delay_alu instid0(VALU_DEP_2)
	v_dual_cndmask_b32 v16, v20, v9 :: v_dual_and_b32 v21, 7, v19
	v_lshrrev_b32_e32 v20, 16, v10
	v_cmp_ne_u32_e32 vcc_lo, 0, v7
	v_mul_f64_e32 v[9:10], s[8:9], v[13:14]
	v_bfe_u32 v13, v8, 20, 11
	v_cmp_eq_u32_e64 s0, 3, v21
	v_and_or_b32 v14, 0x8000, v20, v16
	s_wait_alu 0xfffd
	v_cndmask_b32_e64 v7, 0, 1, vcc_lo
	v_cmp_lt_i32_e32 vcc_lo, 5, v21
	v_sub_nc_u32_e32 v16, 0x3f1, v13
	v_and_or_b32 v11, 0x1ff, v12, v11
	v_lshl_or_b32 v4, v14, 16, v4
	v_lshrrev_b32_e32 v14, 2, v19
	v_and_or_b32 v7, 0xffe, v22, v7
	s_or_b32 vcc_lo, s0, vcc_lo
	v_med3_i32 v16, v16, 0, 13
	v_lshrrev_b32_e32 v21, 8, v12
	s_wait_alu 0xfffe
	v_add_co_ci_u32_e32 v14, vcc_lo, 0, v14, vcc_lo
	v_or_b32_e32 v19, 0x1000, v7
	v_cmp_ne_u32_e32 vcc_lo, 0, v0
	v_bfe_u32 v22, v12, 20, 11
	v_add_nc_u32_e32 v13, 0xfffffc10, v13
	v_lshrrev_b32_e32 v8, 16, v8
	v_lshrrev_b32_e32 v20, v16, v19
	s_wait_alu 0xfffd
	v_cndmask_b32_e64 v0, 0, 1, vcc_lo
	v_cmp_gt_i32_e32 vcc_lo, 31, v18
	v_lshrrev_b32_e32 v12, 16, v12
	v_lshlrev_b32_e32 v16, v16, v20
	s_delay_alu instid0(VALU_DEP_4)
	v_lshl_or_b32 v0, v0, 9, 0x7c00
	s_wait_alu 0xfffd
	v_cndmask_b32_e32 v14, 0x7c00, v14, vcc_lo
	v_cmp_ne_u32_e32 vcc_lo, 0, v11
	s_wait_alu 0xfffd
	v_cndmask_b32_e64 v11, 0, 1, vcc_lo
	v_cmp_ne_u32_e32 vcc_lo, v16, v19
	v_sub_nc_u32_e32 v19, 0x3f1, v22
	v_and_or_b32 v9, 0x1ff, v10, v9
	s_delay_alu instid0(VALU_DEP_4)
	v_and_or_b32 v11, 0xffe, v21, v11
	s_wait_alu 0xfffd
	v_cndmask_b32_e64 v16, 0, 1, vcc_lo
	v_cmp_eq_u32_e32 vcc_lo, 0x40f, v18
	v_med3_i32 v19, v19, 0, 13
	v_bfe_u32 v21, v10, 20, 11
	v_or_b32_e32 v18, 0x1000, v11
	s_wait_alu 0xfffd
	v_cndmask_b32_e32 v0, v14, v0, vcc_lo
	v_or_b32_e32 v14, v20, v16
	v_lshl_or_b32 v16, v13, 12, v7
	v_cmp_gt_i32_e32 vcc_lo, 1, v13
	v_lshrrev_b32_e32 v20, 8, v10
	v_and_or_b32 v0, 0x8000, v1, v0
	v_lshrrev_b32_e32 v10, 16, v10
	s_wait_alu 0xfffd
	v_cndmask_b32_e32 v14, v16, v14, vcc_lo
	v_lshrrev_b32_e32 v16, v19, v18
	v_cmp_ne_u32_e32 vcc_lo, 0, v9
	s_delay_alu instid0(VALU_DEP_3) | instskip(NEXT) | instid1(VALU_DEP_3)
	v_and_b32_e32 v23, 7, v14
	v_lshlrev_b32_e32 v19, v19, v16
	s_wait_alu 0xfffd
	v_cndmask_b32_e64 v9, 0, 1, vcc_lo
	v_lshrrev_b32_e32 v14, 2, v14
	v_cmp_lt_i32_e32 vcc_lo, 5, v23
	v_cmp_ne_u32_e64 s0, v19, v18
	s_delay_alu instid0(VALU_DEP_4)
	v_and_or_b32 v1, 0xffe, v20, v9
	v_sub_nc_u32_e32 v9, 0x3f1, v21
	v_add_nc_u32_e32 v20, 0xfffffc10, v22
	s_wait_alu 0xf1ff
	v_cndmask_b32_e64 v18, 0, 1, s0
	v_cmp_eq_u32_e64 s0, 3, v23
	v_or_b32_e32 v19, 0x1000, v1
	v_med3_i32 v9, v9, 0, 13
	v_lshl_or_b32 v22, v20, 12, v11
	v_or_b32_e32 v16, v16, v18
	s_or_b32 vcc_lo, s0, vcc_lo
	s_wait_alu 0xfffe
	v_add_co_ci_u32_e32 v14, vcc_lo, 0, v14, vcc_lo
	v_lshrrev_b32_e32 v18, v9, v19
	v_cmp_gt_i32_e32 vcc_lo, 1, v20
	s_wait_alu 0xfffd
	s_delay_alu instid0(VALU_DEP_2) | instskip(SKIP_3) | instid1(VALU_DEP_3)
	v_dual_cndmask_b32 v16, v22, v16 :: v_dual_lshlrev_b32 v9, v9, v18
	v_cmp_ne_u32_e32 vcc_lo, 0, v7
	s_wait_alu 0xfffd
	v_cndmask_b32_e64 v7, 0, 1, vcc_lo
	v_cmp_ne_u32_e32 vcc_lo, v9, v19
	v_add_nc_u32_e32 v19, 0xfffffc10, v21
	v_and_b32_e32 v21, 7, v16
	s_delay_alu instid0(VALU_DEP_4)
	v_lshl_or_b32 v7, v7, 9, 0x7c00
	s_wait_alu 0xfffd
	v_cndmask_b32_e64 v9, 0, 1, vcc_lo
	v_cmp_gt_i32_e32 vcc_lo, 31, v13
	v_cmp_gt_i32_e64 s1, 1, v19
	v_cmp_eq_u32_e64 s0, 3, v21
	s_delay_alu instid0(VALU_DEP_4)
	v_or_b32_e32 v9, v18, v9
	v_lshl_or_b32 v18, v19, 12, v1
	s_wait_alu 0xfffd
	v_cndmask_b32_e32 v14, 0x7c00, v14, vcc_lo
	v_cmp_lt_i32_e32 vcc_lo, 5, v21
	s_wait_alu 0xf1ff
	v_cndmask_b32_e64 v9, v18, v9, s1
	v_cmp_eq_u32_e64 s1, 0x40f, v13
	v_lshrrev_b32_e32 v13, 2, v16
	s_or_b32 vcc_lo, s0, vcc_lo
	s_delay_alu instid0(VALU_DEP_2) | instskip(SKIP_1) | instid1(VALU_DEP_2)
	v_cndmask_b32_e64 v7, v14, v7, s1
	s_wait_alu 0xfffe
	v_add_co_ci_u32_e32 v13, vcc_lo, 0, v13, vcc_lo
	v_and_b32_e32 v14, 7, v9
	v_cmp_ne_u32_e32 vcc_lo, 0, v11
	v_lshrrev_b32_e32 v9, 2, v9
	v_cmp_gt_i32_e64 s1, 31, v20
	v_and_or_b32 v7, 0x8000, v8, v7
	v_cmp_eq_u32_e64 s0, 3, v14
	s_wait_alu 0xfffd
	v_cndmask_b32_e64 v11, 0, 1, vcc_lo
	v_cmp_lt_i32_e32 vcc_lo, 5, v14
	s_wait_alu 0xf1ff
	v_cndmask_b32_e64 v13, 0x7c00, v13, s1
	v_and_b32_e32 v8, 0xffff, v0
	v_lshl_or_b32 v11, v11, 9, 0x7c00
	s_or_b32 vcc_lo, s0, vcc_lo
	s_wait_alu 0xfffe
	v_add_co_ci_u32_e32 v9, vcc_lo, 0, v9, vcc_lo
	v_cmp_ne_u32_e32 vcc_lo, 0, v1
	s_wait_alu 0xfffd
	v_cndmask_b32_e64 v1, 0, 1, vcc_lo
	v_cmp_eq_u32_e32 vcc_lo, 0x40f, v20
	s_delay_alu instid0(VALU_DEP_2) | instskip(SKIP_3) | instid1(VALU_DEP_2)
	v_lshl_or_b32 v1, v1, 9, 0x7c00
	s_wait_alu 0xfffd
	v_cndmask_b32_e32 v11, v13, v11, vcc_lo
	v_cmp_gt_i32_e32 vcc_lo, 31, v19
	v_and_or_b32 v11, 0x8000, v12, v11
	s_wait_alu 0xfffd
	v_cndmask_b32_e32 v9, 0x7c00, v9, vcc_lo
	v_cmp_eq_u32_e32 vcc_lo, 0x40f, v19
	v_lshl_or_b32 v12, v7, 16, v8
	s_wait_alu 0xfffd
	s_delay_alu instid0(VALU_DEP_3) | instskip(SKIP_3) | instid1(VALU_DEP_3)
	v_cndmask_b32_e32 v9, v9, v1, vcc_lo
	v_add_co_u32 v0, vcc_lo, v2, s4
	s_wait_alu 0xfffd
	v_add_co_ci_u32_e32 v1, vcc_lo, s5, v3, vcc_lo
	v_and_or_b32 v9, 0x8000, v10, v9
	v_and_b32_e32 v10, 0xffff, v11
	v_add_co_u32 v7, vcc_lo, v0, s2
	s_wait_alu 0xfffd
	v_add_co_ci_u32_e32 v8, vcc_lo, s3, v1, vcc_lo
	s_delay_alu instid0(VALU_DEP_3) | instskip(NEXT) | instid1(VALU_DEP_3)
	v_lshl_or_b32 v11, v9, 16, v10
	v_add_co_u32 v9, vcc_lo, v7, s2
	s_wait_alu 0xfffd
	s_delay_alu instid0(VALU_DEP_3)
	v_add_co_ci_u32_e32 v10, vcc_lo, s3, v8, vcc_lo
	global_store_b32 v[5:6], v15, off
	global_store_b32 v[2:3], v17, off
	;; [unrolled: 1-line block ×5, first 2 shown]
.LBB0_10:
	s_nop 0
	s_sendmsg sendmsg(MSG_DEALLOC_VGPRS)
	s_endpgm
	.section	.rodata,"a",@progbits
	.p2align	6, 0x0
	.amdhsa_kernel bluestein_single_back_len156_dim1_half_op_CI_CI
		.amdhsa_group_segment_fixed_size 5616
		.amdhsa_private_segment_fixed_size 0
		.amdhsa_kernarg_size 104
		.amdhsa_user_sgpr_count 2
		.amdhsa_user_sgpr_dispatch_ptr 0
		.amdhsa_user_sgpr_queue_ptr 0
		.amdhsa_user_sgpr_kernarg_segment_ptr 1
		.amdhsa_user_sgpr_dispatch_id 0
		.amdhsa_user_sgpr_private_segment_size 0
		.amdhsa_wavefront_size32 1
		.amdhsa_uses_dynamic_stack 0
		.amdhsa_enable_private_segment 0
		.amdhsa_system_sgpr_workgroup_id_x 1
		.amdhsa_system_sgpr_workgroup_id_y 0
		.amdhsa_system_sgpr_workgroup_id_z 0
		.amdhsa_system_sgpr_workgroup_info 0
		.amdhsa_system_vgpr_workitem_id 0
		.amdhsa_next_free_vgpr 215
		.amdhsa_next_free_sgpr 20
		.amdhsa_reserve_vcc 1
		.amdhsa_float_round_mode_32 0
		.amdhsa_float_round_mode_16_64 0
		.amdhsa_float_denorm_mode_32 3
		.amdhsa_float_denorm_mode_16_64 3
		.amdhsa_fp16_overflow 0
		.amdhsa_workgroup_processor_mode 1
		.amdhsa_memory_ordered 1
		.amdhsa_forward_progress 0
		.amdhsa_round_robin_scheduling 0
		.amdhsa_exception_fp_ieee_invalid_op 0
		.amdhsa_exception_fp_denorm_src 0
		.amdhsa_exception_fp_ieee_div_zero 0
		.amdhsa_exception_fp_ieee_overflow 0
		.amdhsa_exception_fp_ieee_underflow 0
		.amdhsa_exception_fp_ieee_inexact 0
		.amdhsa_exception_int_div_zero 0
	.end_amdhsa_kernel
	.text
.Lfunc_end0:
	.size	bluestein_single_back_len156_dim1_half_op_CI_CI, .Lfunc_end0-bluestein_single_back_len156_dim1_half_op_CI_CI
                                        ; -- End function
	.section	.AMDGPU.csdata,"",@progbits
; Kernel info:
; codeLenInByte = 21352
; NumSgprs: 22
; NumVgprs: 215
; ScratchSize: 0
; MemoryBound: 0
; FloatMode: 240
; IeeeMode: 1
; LDSByteSize: 5616 bytes/workgroup (compile time only)
; SGPRBlocks: 2
; VGPRBlocks: 26
; NumSGPRsForWavesPerEU: 22
; NumVGPRsForWavesPerEU: 215
; Occupancy: 7
; WaveLimiterHint : 1
; COMPUTE_PGM_RSRC2:SCRATCH_EN: 0
; COMPUTE_PGM_RSRC2:USER_SGPR: 2
; COMPUTE_PGM_RSRC2:TRAP_HANDLER: 0
; COMPUTE_PGM_RSRC2:TGID_X_EN: 1
; COMPUTE_PGM_RSRC2:TGID_Y_EN: 0
; COMPUTE_PGM_RSRC2:TGID_Z_EN: 0
; COMPUTE_PGM_RSRC2:TIDIG_COMP_CNT: 0
	.text
	.p2alignl 7, 3214868480
	.fill 96, 4, 3214868480
	.type	__hip_cuid_fc29fb8854df472f,@object ; @__hip_cuid_fc29fb8854df472f
	.section	.bss,"aw",@nobits
	.globl	__hip_cuid_fc29fb8854df472f
__hip_cuid_fc29fb8854df472f:
	.byte	0                               ; 0x0
	.size	__hip_cuid_fc29fb8854df472f, 1

	.ident	"AMD clang version 19.0.0git (https://github.com/RadeonOpenCompute/llvm-project roc-6.4.0 25133 c7fe45cf4b819c5991fe208aaa96edf142730f1d)"
	.section	".note.GNU-stack","",@progbits
	.addrsig
	.addrsig_sym __hip_cuid_fc29fb8854df472f
	.amdgpu_metadata
---
amdhsa.kernels:
  - .args:
      - .actual_access:  read_only
        .address_space:  global
        .offset:         0
        .size:           8
        .value_kind:     global_buffer
      - .actual_access:  read_only
        .address_space:  global
        .offset:         8
        .size:           8
        .value_kind:     global_buffer
      - .actual_access:  read_only
        .address_space:  global
        .offset:         16
        .size:           8
        .value_kind:     global_buffer
      - .actual_access:  read_only
        .address_space:  global
        .offset:         24
        .size:           8
        .value_kind:     global_buffer
      - .actual_access:  read_only
        .address_space:  global
        .offset:         32
        .size:           8
        .value_kind:     global_buffer
      - .offset:         40
        .size:           8
        .value_kind:     by_value
      - .address_space:  global
        .offset:         48
        .size:           8
        .value_kind:     global_buffer
      - .address_space:  global
        .offset:         56
        .size:           8
        .value_kind:     global_buffer
      - .address_space:  global
        .offset:         64
        .size:           8
        .value_kind:     global_buffer
      - .address_space:  global
        .offset:         72
        .size:           8
        .value_kind:     global_buffer
      - .offset:         80
        .size:           4
        .value_kind:     by_value
      - .address_space:  global
        .offset:         88
        .size:           8
        .value_kind:     global_buffer
      - .address_space:  global
        .offset:         96
        .size:           8
        .value_kind:     global_buffer
    .group_segment_fixed_size: 5616
    .kernarg_segment_align: 8
    .kernarg_segment_size: 104
    .language:       OpenCL C
    .language_version:
      - 2
      - 0
    .max_flat_workgroup_size: 117
    .name:           bluestein_single_back_len156_dim1_half_op_CI_CI
    .private_segment_fixed_size: 0
    .sgpr_count:     22
    .sgpr_spill_count: 0
    .symbol:         bluestein_single_back_len156_dim1_half_op_CI_CI.kd
    .uniform_work_group_size: 1
    .uses_dynamic_stack: false
    .vgpr_count:     215
    .vgpr_spill_count: 0
    .wavefront_size: 32
    .workgroup_processor_mode: 1
amdhsa.target:   amdgcn-amd-amdhsa--gfx1201
amdhsa.version:
  - 1
  - 2
...

	.end_amdgpu_metadata
